;; amdgpu-corpus repo=ROCm/rocFFT kind=compiled arch=gfx1030 opt=O3
	.text
	.amdgcn_target "amdgcn-amd-amdhsa--gfx1030"
	.amdhsa_code_object_version 6
	.protected	fft_rtc_fwd_len1190_factors_17_2_5_7_wgs_255_tpt_85_halfLds_half_op_CI_CI_unitstride_sbrr_dirReg ; -- Begin function fft_rtc_fwd_len1190_factors_17_2_5_7_wgs_255_tpt_85_halfLds_half_op_CI_CI_unitstride_sbrr_dirReg
	.globl	fft_rtc_fwd_len1190_factors_17_2_5_7_wgs_255_tpt_85_halfLds_half_op_CI_CI_unitstride_sbrr_dirReg
	.p2align	8
	.type	fft_rtc_fwd_len1190_factors_17_2_5_7_wgs_255_tpt_85_halfLds_half_op_CI_CI_unitstride_sbrr_dirReg,@function
fft_rtc_fwd_len1190_factors_17_2_5_7_wgs_255_tpt_85_halfLds_half_op_CI_CI_unitstride_sbrr_dirReg: ; @fft_rtc_fwd_len1190_factors_17_2_5_7_wgs_255_tpt_85_halfLds_half_op_CI_CI_unitstride_sbrr_dirReg
; %bb.0:
	s_load_dwordx4 s[12:15], s[4:5], 0x0
	v_mul_u32_u24_e32 v1, 0x304, v0
	s_clause 0x1
	s_load_dwordx4 s[8:11], s[4:5], 0x58
	s_load_dwordx4 s[16:19], s[4:5], 0x18
	v_mov_b32_e32 v3, 0
	v_mov_b32_e32 v9, 0
	;; [unrolled: 1-line block ×3, first 2 shown]
	v_lshrrev_b32_e32 v1, 16, v1
	v_mad_u64_u32 v[7:8], null, s6, 3, v[1:2]
	v_mov_b32_e32 v8, v3
	v_mov_b32_e32 v1, v9
	;; [unrolled: 1-line block ×4, first 2 shown]
	s_waitcnt lgkmcnt(0)
	v_cmp_lt_u64_e64 s0, s[14:15], 2
	v_mov_b32_e32 v6, v8
	s_and_b32 vcc_lo, exec_lo, s0
	s_cbranch_vccnz .LBB0_8
; %bb.1:
	s_load_dwordx2 s[0:1], s[4:5], 0x10
	v_mov_b32_e32 v9, 0
	v_mov_b32_e32 v10, 0
	s_add_u32 s2, s18, 8
	v_mov_b32_e32 v12, v8
	s_addc_u32 s3, s19, 0
	v_mov_b32_e32 v1, v9
	v_mov_b32_e32 v11, v7
	s_add_u32 s6, s16, 8
	v_mov_b32_e32 v2, v10
	s_addc_u32 s7, s17, 0
	s_mov_b64 s[22:23], 1
	s_waitcnt lgkmcnt(0)
	s_add_u32 s20, s0, 8
	s_addc_u32 s21, s1, 0
.LBB0_2:                                ; =>This Inner Loop Header: Depth=1
	s_load_dwordx2 s[24:25], s[20:21], 0x0
                                        ; implicit-def: $vgpr5_vgpr6
	s_mov_b32 s0, exec_lo
	s_waitcnt lgkmcnt(0)
	v_or_b32_e32 v4, s25, v12
	v_cmpx_ne_u64_e32 0, v[3:4]
	s_xor_b32 s1, exec_lo, s0
	s_cbranch_execz .LBB0_4
; %bb.3:                                ;   in Loop: Header=BB0_2 Depth=1
	v_cvt_f32_u32_e32 v4, s24
	v_cvt_f32_u32_e32 v5, s25
	s_sub_u32 s0, 0, s24
	s_subb_u32 s26, 0, s25
	v_fmac_f32_e32 v4, 0x4f800000, v5
	v_rcp_f32_e32 v4, v4
	v_mul_f32_e32 v4, 0x5f7ffffc, v4
	v_mul_f32_e32 v5, 0x2f800000, v4
	v_trunc_f32_e32 v5, v5
	v_fmac_f32_e32 v4, 0xcf800000, v5
	v_cvt_u32_f32_e32 v5, v5
	v_cvt_u32_f32_e32 v4, v4
	v_mul_lo_u32 v6, s0, v5
	v_mul_hi_u32 v8, s0, v4
	v_mul_lo_u32 v13, s26, v4
	v_add_nc_u32_e32 v6, v8, v6
	v_mul_lo_u32 v8, s0, v4
	v_add_nc_u32_e32 v6, v6, v13
	v_mul_hi_u32 v13, v4, v8
	v_mul_lo_u32 v14, v4, v6
	v_mul_hi_u32 v15, v4, v6
	v_mul_hi_u32 v16, v5, v8
	v_mul_lo_u32 v8, v5, v8
	v_mul_hi_u32 v17, v5, v6
	v_mul_lo_u32 v6, v5, v6
	v_add_co_u32 v13, vcc_lo, v13, v14
	v_add_co_ci_u32_e32 v14, vcc_lo, 0, v15, vcc_lo
	v_add_co_u32 v8, vcc_lo, v13, v8
	v_add_co_ci_u32_e32 v8, vcc_lo, v14, v16, vcc_lo
	v_add_co_ci_u32_e32 v13, vcc_lo, 0, v17, vcc_lo
	v_add_co_u32 v6, vcc_lo, v8, v6
	v_add_co_ci_u32_e32 v8, vcc_lo, 0, v13, vcc_lo
	v_add_co_u32 v4, vcc_lo, v4, v6
	v_add_co_ci_u32_e32 v5, vcc_lo, v5, v8, vcc_lo
	v_mul_hi_u32 v6, s0, v4
	v_mul_lo_u32 v13, s26, v4
	v_mul_lo_u32 v8, s0, v5
	v_add_nc_u32_e32 v6, v6, v8
	v_mul_lo_u32 v8, s0, v4
	v_add_nc_u32_e32 v6, v6, v13
	v_mul_hi_u32 v13, v4, v8
	v_mul_lo_u32 v14, v4, v6
	v_mul_hi_u32 v15, v4, v6
	v_mul_hi_u32 v16, v5, v8
	v_mul_lo_u32 v8, v5, v8
	v_mul_hi_u32 v17, v5, v6
	v_mul_lo_u32 v6, v5, v6
	v_add_co_u32 v13, vcc_lo, v13, v14
	v_add_co_ci_u32_e32 v14, vcc_lo, 0, v15, vcc_lo
	v_add_co_u32 v8, vcc_lo, v13, v8
	v_add_co_ci_u32_e32 v8, vcc_lo, v14, v16, vcc_lo
	v_add_co_ci_u32_e32 v13, vcc_lo, 0, v17, vcc_lo
	v_add_co_u32 v6, vcc_lo, v8, v6
	v_add_co_ci_u32_e32 v8, vcc_lo, 0, v13, vcc_lo
	v_add_co_u32 v6, vcc_lo, v4, v6
	v_add_co_ci_u32_e32 v8, vcc_lo, v5, v8, vcc_lo
	v_mul_hi_u32 v17, v11, v6
	v_mad_u64_u32 v[13:14], null, v12, v6, 0
	v_mad_u64_u32 v[4:5], null, v11, v8, 0
	;; [unrolled: 1-line block ×3, first 2 shown]
	v_add_co_u32 v4, vcc_lo, v17, v4
	v_add_co_ci_u32_e32 v5, vcc_lo, 0, v5, vcc_lo
	v_add_co_u32 v4, vcc_lo, v4, v13
	v_add_co_ci_u32_e32 v4, vcc_lo, v5, v14, vcc_lo
	v_add_co_ci_u32_e32 v5, vcc_lo, 0, v16, vcc_lo
	v_add_co_u32 v8, vcc_lo, v4, v15
	v_add_co_ci_u32_e32 v6, vcc_lo, 0, v5, vcc_lo
	v_mul_lo_u32 v13, s25, v8
	v_mad_u64_u32 v[4:5], null, s24, v8, 0
	v_mul_lo_u32 v14, s24, v6
	v_sub_co_u32 v4, vcc_lo, v11, v4
	v_add3_u32 v5, v5, v14, v13
	v_sub_nc_u32_e32 v13, v12, v5
	v_subrev_co_ci_u32_e64 v13, s0, s25, v13, vcc_lo
	v_add_co_u32 v14, s0, v8, 2
	v_add_co_ci_u32_e64 v15, s0, 0, v6, s0
	v_sub_co_u32 v16, s0, v4, s24
	v_sub_co_ci_u32_e32 v5, vcc_lo, v12, v5, vcc_lo
	v_subrev_co_ci_u32_e64 v13, s0, 0, v13, s0
	v_cmp_le_u32_e32 vcc_lo, s24, v16
	v_cmp_eq_u32_e64 s0, s25, v5
	v_cndmask_b32_e64 v16, 0, -1, vcc_lo
	v_cmp_le_u32_e32 vcc_lo, s25, v13
	v_cndmask_b32_e64 v17, 0, -1, vcc_lo
	v_cmp_le_u32_e32 vcc_lo, s24, v4
	;; [unrolled: 2-line block ×3, first 2 shown]
	v_cndmask_b32_e64 v18, 0, -1, vcc_lo
	v_cmp_eq_u32_e32 vcc_lo, s25, v13
	v_cndmask_b32_e64 v4, v18, v4, s0
	v_cndmask_b32_e32 v13, v17, v16, vcc_lo
	v_add_co_u32 v16, vcc_lo, v8, 1
	v_add_co_ci_u32_e32 v17, vcc_lo, 0, v6, vcc_lo
	v_cmp_ne_u32_e32 vcc_lo, 0, v13
	v_cndmask_b32_e32 v5, v17, v15, vcc_lo
	v_cndmask_b32_e32 v13, v16, v14, vcc_lo
	v_cmp_ne_u32_e32 vcc_lo, 0, v4
	v_cndmask_b32_e32 v6, v6, v5, vcc_lo
	v_cndmask_b32_e32 v5, v8, v13, vcc_lo
.LBB0_4:                                ;   in Loop: Header=BB0_2 Depth=1
	s_andn2_saveexec_b32 s0, s1
	s_cbranch_execz .LBB0_6
; %bb.5:                                ;   in Loop: Header=BB0_2 Depth=1
	v_cvt_f32_u32_e32 v4, s24
	s_sub_i32 s1, 0, s24
	v_rcp_iflag_f32_e32 v4, v4
	v_mul_f32_e32 v4, 0x4f7ffffe, v4
	v_cvt_u32_f32_e32 v4, v4
	v_mul_lo_u32 v5, s1, v4
	v_mul_hi_u32 v5, v4, v5
	v_add_nc_u32_e32 v4, v4, v5
	v_mul_hi_u32 v4, v11, v4
	v_mul_lo_u32 v5, v4, s24
	v_add_nc_u32_e32 v6, 1, v4
	v_sub_nc_u32_e32 v5, v11, v5
	v_subrev_nc_u32_e32 v8, s24, v5
	v_cmp_le_u32_e32 vcc_lo, s24, v5
	v_cndmask_b32_e32 v5, v5, v8, vcc_lo
	v_cndmask_b32_e32 v4, v4, v6, vcc_lo
	v_cmp_le_u32_e32 vcc_lo, s24, v5
	v_add_nc_u32_e32 v6, 1, v4
	v_cndmask_b32_e32 v5, v4, v6, vcc_lo
	v_mov_b32_e32 v6, v3
.LBB0_6:                                ;   in Loop: Header=BB0_2 Depth=1
	s_or_b32 exec_lo, exec_lo, s0
	v_mul_lo_u32 v4, v6, s24
	v_mul_lo_u32 v8, v5, s25
	s_load_dwordx2 s[0:1], s[6:7], 0x0
	v_mad_u64_u32 v[13:14], null, v5, s24, 0
	s_load_dwordx2 s[24:25], s[2:3], 0x0
	s_add_u32 s22, s22, 1
	s_addc_u32 s23, s23, 0
	s_add_u32 s2, s2, 8
	s_addc_u32 s3, s3, 0
	s_add_u32 s6, s6, 8
	v_add3_u32 v4, v14, v8, v4
	v_sub_co_u32 v8, vcc_lo, v11, v13
	s_addc_u32 s7, s7, 0
	s_add_u32 s20, s20, 8
	v_sub_co_ci_u32_e32 v4, vcc_lo, v12, v4, vcc_lo
	s_addc_u32 s21, s21, 0
	s_waitcnt lgkmcnt(0)
	v_mul_lo_u32 v11, s0, v4
	v_mul_lo_u32 v12, s1, v8
	v_mad_u64_u32 v[9:10], null, s0, v8, v[9:10]
	v_mul_lo_u32 v4, s24, v4
	v_mul_lo_u32 v13, s25, v8
	v_mad_u64_u32 v[1:2], null, s24, v8, v[1:2]
	v_cmp_ge_u64_e64 s0, s[22:23], s[14:15]
	v_add3_u32 v10, v12, v10, v11
	v_add3_u32 v2, v13, v2, v4
	s_and_b32 vcc_lo, exec_lo, s0
	s_cbranch_vccnz .LBB0_8
; %bb.7:                                ;   in Loop: Header=BB0_2 Depth=1
	v_mov_b32_e32 v12, v6
	v_mov_b32_e32 v11, v5
	s_branch .LBB0_2
.LBB0_8:
	s_load_dwordx2 s[0:1], s[4:5], 0x28
	v_mul_hi_u32 v3, 0x3030304, v0
	s_lshl_b64 s[4:5], s[14:15], 3
	v_mov_b32_e32 v21, 0
	v_mov_b32_e32 v37, 0
	s_add_u32 s2, s18, s4
	s_addc_u32 s3, s19, s5
                                        ; implicit-def: $vgpr27
                                        ; implicit-def: $vgpr32
                                        ; implicit-def: $vgpr26
                                        ; implicit-def: $vgpr33
                                        ; implicit-def: $vgpr25
                                        ; implicit-def: $vgpr8
                                        ; implicit-def: $vgpr24
                                        ; implicit-def: $vgpr31
                                        ; implicit-def: $vgpr23
                                        ; implicit-def: $vgpr28
                                        ; implicit-def: $vgpr22
                                        ; implicit-def: $vgpr29
                                        ; implicit-def: $vgpr20
                                        ; implicit-def: $vgpr30
                                        ; implicit-def: $vgpr19
                                        ; implicit-def: $vgpr34
                                        ; implicit-def: $vgpr18
                                        ; implicit-def: $vgpr35
                                        ; implicit-def: $vgpr17
                                        ; implicit-def: $vgpr36
                                        ; implicit-def: $vgpr16
                                        ; implicit-def: $vgpr38
                                        ; implicit-def: $vgpr14
                                        ; implicit-def: $vgpr39
                                        ; implicit-def: $vgpr13
                                        ; implicit-def: $vgpr40
                                        ; implicit-def: $vgpr11
                                        ; implicit-def: $vgpr43
                                        ; implicit-def: $vgpr12
                                        ; implicit-def: $vgpr42
                                        ; implicit-def: $vgpr15
                                        ; implicit-def: $vgpr41
	v_mul_u32_u24_e32 v3, 0x55, v3
	v_sub_nc_u32_e32 v3, v0, v3
	s_waitcnt lgkmcnt(0)
	v_cmp_gt_u64_e32 vcc_lo, s[0:1], v[5:6]
	v_cmp_gt_u32_e64 s0, 0x46, v3
	s_and_b32 s1, vcc_lo, s0
	s_and_saveexec_b32 s6, s1
	s_cbranch_execz .LBB0_10
; %bb.9:
	s_add_u32 s4, s16, s4
	s_addc_u32 s5, s17, s5
	v_lshlrev_b64 v[8:9], 2, v[9:10]
	s_load_dwordx2 s[4:5], s[4:5], 0x0
	s_waitcnt lgkmcnt(0)
	v_mul_lo_u32 v0, s5, v5
	v_mul_lo_u32 v4, s4, v6
	v_mad_u64_u32 v[11:12], null, s4, v5, 0
	v_add3_u32 v12, v12, v4, v0
	v_mov_b32_e32 v4, 0
	v_lshlrev_b64 v[11:12], 2, v[11:12]
	v_add_co_u32 v0, s1, s8, v11
	v_add_co_ci_u32_e64 v12, s1, s9, v12, s1
	v_lshlrev_b64 v[10:11], 2, v[3:4]
	v_add_co_u32 v0, s1, v0, v8
	v_add_co_ci_u32_e64 v4, s1, v12, v9, s1
	v_add_co_u32 v9, s1, v0, v10
	v_add_co_ci_u32_e64 v10, s1, v4, v11, s1
	s_clause 0x7
	global_load_dword v37, v[9:10], off
	global_load_dword v32, v[9:10], off offset:280
	global_load_dword v33, v[9:10], off offset:560
	;; [unrolled: 1-line block ×7, first 2 shown]
	v_add_co_u32 v11, s1, 0x800, v9
	v_add_co_ci_u32_e64 v12, s1, 0, v10, s1
	v_add_co_u32 v9, s1, 0x1000, v9
	v_add_co_ci_u32_e64 v10, s1, 0, v10, s1
	s_clause 0x8
	global_load_dword v34, v[11:12], off offset:192
	global_load_dword v35, v[11:12], off offset:472
	global_load_dword v36, v[11:12], off offset:752
	global_load_dword v38, v[11:12], off offset:1032
	global_load_dword v39, v[11:12], off offset:1312
	global_load_dword v40, v[11:12], off offset:1592
	global_load_dword v41, v[11:12], off offset:1872
	global_load_dword v42, v[9:10], off offset:104
	global_load_dword v43, v[9:10], off offset:384
	s_waitcnt vmcnt(16)
	v_lshrrev_b32_e32 v21, 16, v37
	s_waitcnt vmcnt(15)
	v_lshrrev_b32_e32 v27, 16, v32
	;; [unrolled: 2-line block ×17, first 2 shown]
.LBB0_10:
	s_or_b32 exec_lo, exec_lo, s6
	v_add_f16_e32 v57, v32, v43
	v_sub_f16_e32 v10, v27, v11
	v_add_f16_e32 v56, v33, v42
	v_sub_f16_e32 v44, v26, v12
	v_add_f16_e32 v48, v8, v41
	v_mul_f16_e32 v59, 0x3722, v57
	v_sub_f16_e32 v9, v25, v15
	v_mul_f16_e32 v60, 0xb8d2, v56
	v_add_f16_e32 v49, v31, v40
	v_mul_f16_e32 v61, 0xbbdd, v48
	v_fmamk_f16 v4, v10, 0xbb29, v59
	v_sub_f16_e32 v45, v24, v13
	v_fmamk_f16 v47, v44, 0xba62, v60
	v_add_f16_e32 v50, v28, v39
	v_mul_f16_e32 v62, 0xb461, v49
	v_add_f16_e32 v4, v37, v4
	v_fmamk_f16 v51, v9, 0x31e1, v61
	v_mul_hi_u32 v0, 0xaaaaaaab, v7
	v_sub_f16_e32 v46, v23, v14
	v_add_f16_e32 v52, v29, v38
	v_add_f16_e32 v4, v4, v47
	v_mul_f16_e32 v63, 0x39e9, v50
	v_fmamk_f16 v54, v45, 0x3bb2, v62
	v_sub_f16_e32 v47, v22, v16
	v_add_f16_e32 v53, v30, v36
	v_add_f16_e32 v4, v4, v51
	v_mul_f16_e32 v64, 0x3b76, v52
	v_fmamk_f16 v55, v46, 0x3964, v63
	v_lshrrev_b32_e32 v0, 1, v0
	v_sub_f16_e32 v51, v20, v17
	v_add_f16_e32 v4, v54, v4
	v_add_f16_e32 v54, v34, v35
	v_mul_f16_e32 v65, 0x2de8, v53
	v_fmamk_f16 v66, v47, 0xb5c8, v64
	v_lshl_add_u32 v0, v0, 1, v0
	v_add_f16_e32 v4, v55, v4
	v_sub_f16_e32 v55, v19, v18
	v_mul_f16_e32 v58, 0xbacd, v54
	v_fmamk_f16 v67, v51, 0xbbf7, v65
	v_sub_nc_u32_e32 v0, v7, v0
	v_add_f16_e32 v4, v66, v4
	v_fmamk_f16 v7, v55, 0xb836, v58
	v_mul_u32_u24_e32 v0, 0x4a6, v0
	v_add_f16_e32 v4, v67, v4
	v_lshlrev_b32_e32 v0, 1, v0
	v_add_f16_e32 v4, v7, v4
	s_and_saveexec_b32 s1, s0
	s_cbranch_execz .LBB0_12
; %bb.11:
	v_mul_f16_e32 v67, 0xb1e1, v10
	v_mul_f16_e32 v73, 0x35c8, v44
	v_mul_f16_e32 v78, 0xb836, v9
	v_mul_f16_e32 v7, 0xbb29, v10
	v_mul_f16_e32 v82, 0x3964, v45
	v_fma_f16 v72, v57, 0xbbdd, -v67
	v_fma_f16 v77, v56, 0x3b76, -v73
	v_mul_f16_e32 v66, 0xba62, v44
	v_mul_f16_e32 v84, 0xba62, v46
	v_pk_mul_f16 v88, 0xbbb2bbf7, v10 op_sel_hi:[1,0]
	v_add_f16_e32 v72, v37, v72
	v_sub_f16_e32 v7, v59, v7
	v_mul_f16_e32 v68, 0x31e1, v9
	v_mul_f16_e32 v86, 0x3b29, v47
	v_fmamk_f16 v91, v57, 0x2de8, v88
	v_add_f16_e32 v72, v72, v77
	v_fma_f16 v77, v48, 0xbacd, -v78
	v_pk_mul_f16 v92, 0x3836b1e1, v44 op_sel_hi:[1,0]
	v_add_f16_e32 v7, v37, v7
	v_sub_f16_e32 v60, v60, v66
	v_mul_f16_e32 v69, 0x3bb2, v45
	v_add_f16_e32 v72, v72, v77
	v_fma_f16 v77, v49, 0x39e9, -v82
	v_add_f16_e32 v91, v37, v91
	v_fmamk_f16 v94, v56, 0xbbdd, v92
	v_pk_mul_f16 v95, 0x39643bb2, v9 op_sel_hi:[1,0]
	v_add_f16_e32 v7, v7, v60
	v_add_f16_e32 v72, v77, v72
	v_fma_f16 v77, v50, 0xb8d2, -v84
	v_sub_f16_e32 v60, v61, v68
	v_mul_f16_e32 v70, 0x3964, v46
	v_mul_f16_e32 v89, 0xbbb2, v51
	v_mul_f16_e32 v71, 0xb5c8, v47
	v_add_f16_e32 v72, v77, v72
	v_fma_f16 v77, v52, 0x3722, -v86
	v_add_f16_e32 v7, v7, v60
	v_sub_f16_e32 v60, v62, v69
	v_fma_f16 v66, v53, 0xb461, -v89
	v_mul_f16_e32 v74, 0xbbf7, v51
	v_add_f16_e32 v59, v77, v72
	v_pk_mul_f16 v72, 0xbb2935c8, v45 op_sel_hi:[1,0]
	v_add_f16_e32 v77, v91, v94
	v_fmamk_f16 v91, v48, 0xb461, v95
	v_pk_mul_f16 v94, 0xb1e1bb29, v46 op_sel_hi:[1,0]
	v_add_f16_e32 v7, v60, v7
	v_sub_f16_e32 v60, v63, v70
	v_add_f16_e32 v59, v66, v59
	v_add_f16_e32 v77, v77, v91
	v_fmamk_f16 v91, v49, 0x3b76, v72
	v_pk_mul_f16 v61, 0x3bf7b836, v47 op_sel_hi:[1,0]
	v_fmamk_f16 v68, v50, 0x3722, v94
	v_add_f16_e32 v7, v60, v7
	v_sub_f16_e32 v60, v64, v71
	v_add_f16_e32 v66, v91, v77
	v_mul_f16_e32 v75, 0xb836, v55
	v_pk_mul_f16 v69, 0xb5c83a62, v51 op_sel_hi:[1,0]
	v_add_f16_e32 v70, v37, v32
	v_add_f16_e32 v7, v60, v7
	;; [unrolled: 1-line block ×3, first 2 shown]
	v_fmamk_f16 v68, v52, 0xbacd, v61
	v_sub_f16_e32 v60, v65, v74
	v_sub_f16_e32 v58, v58, v75
	v_pk_mul_f16 v74, 0x2de839e9, v56 op_sel_hi:[1,0]
	v_pk_mul_f16 v75, 0xb8d23722, v48 op_sel_hi:[1,0]
	v_add_f16_e32 v63, v68, v66
	v_fmamk_f16 v66, v53, 0xb8d2, v69
	v_add_f16_e32 v7, v60, v7
	v_add_f16_e32 v60, v70, v33
	v_pk_mul_f16 v68, 0xba623964, v55 op_sel_hi:[1,0]
	v_mul_f16_e32 v93, 0x3bf7, v55
	v_add_f16_e32 v63, v66, v63
	v_pk_mul_f16 v66, 0x39e93b76, v57 op_sel_hi:[1,0]
	v_add_f16_e32 v7, v58, v7
	v_add_f16_e32 v58, v60, v8
	v_fmamk_f16 v65, v54, 0x39e9, v68
	v_pk_mul_f16 v77, 0xbacdb461, v50 op_sel_hi:[1,0]
	v_pk_fma_f16 v71, 0xb964b5c8, v10, v66 op_sel_hi:[1,0,1] neg_lo:[0,1,0] neg_hi:[0,1,0]
	v_fma_f16 v62, v54, 0x2de8, -v93
	v_add_f16_e32 v58, v58, v31
	v_add_f16_e32 v63, v65, v63
	v_pk_fma_f16 v65, 0xba62bb29, v9, v75 op_sel_hi:[1,0,1] neg_lo:[0,1,0] neg_hi:[0,1,0]
	v_pk_add_f16 v70, v37, v71 op_sel_hi:[0,1]
	v_pk_fma_f16 v71, 0xbbf7b964, v44, v74 op_sel_hi:[1,0,1] neg_lo:[0,1,0] neg_hi:[0,1,0]
	v_add_f16_e32 v58, v58, v28
	v_pk_mul_f16 v91, 0xb461b8d2, v52 op_sel_hi:[1,0]
	v_add_f16_e32 v59, v62, v59
	v_pk_mul_f16 v62, 0xb836ba62, v10 op_sel_hi:[1,0]
	v_pk_add_f16 v60, v70, v71
	v_pk_mul_f16 v70, 0xbbdd2de8, v49 op_sel_hi:[1,0]
	v_pk_fma_f16 v71, 0xb4612de8, v57, v88 op_sel_hi:[1,0,1] neg_lo:[0,0,1] neg_hi:[0,0,1]
	v_add_f16_e32 v58, v58, v29
	v_pk_fma_f16 v88, 0xbacdbbdd, v56, v92 op_sel_hi:[1,0,1] neg_lo:[0,0,1] neg_hi:[0,0,1]
	v_pk_add_f16 v60, v60, v65
	v_pk_fma_f16 v65, 0xb1e1bbf7, v45, v70 op_sel_hi:[1,0,1] neg_lo:[0,1,0] neg_hi:[0,1,0]
	v_pk_add_f16 v71, v37, v71 op_sel_hi:[0,1]
	v_add_f16_e32 v58, v58, v30
	v_pk_mul_f16 v92, 0x3722bacd, v53 op_sel_hi:[1,0]
	v_pk_fma_f16 v72, 0x37223b76, v49, v72 op_sel_hi:[1,0,1] neg_lo:[0,0,1] neg_hi:[0,0,1]
	v_pk_add_f16 v60, v65, v60
	v_pk_fma_f16 v65, 0x3836bbb2, v46, v77 op_sel_hi:[1,0,1] neg_lo:[0,1,0] neg_hi:[0,1,0]
	v_pk_add_f16 v71, v71, v88
	v_pk_fma_f16 v88, 0x39e9b461, v48, v95 op_sel_hi:[1,0,1] neg_lo:[0,0,1] neg_hi:[0,0,1]
	v_add_f16_e32 v58, v58, v34
	v_pk_mul_f16 v64, 0x3b293bb2, v44 op_sel_hi:[1,0]
	v_pk_add_f16 v60, v65, v60
	v_pk_fma_f16 v65, 0x3bb2ba62, v47, v91 op_sel_hi:[1,0,1] neg_lo:[0,1,0] neg_hi:[0,1,0]
	v_pk_add_f16 v71, v71, v88
	v_add_f16_e32 v58, v58, v35
	v_pk_mul_f16 v88, 0x3b76bbdd, v54 op_sel_hi:[1,0]
	v_mul_f16_e32 v76, 0xbbdd, v57
	v_pk_add_f16 v60, v65, v60
	v_pk_fma_f16 v65, 0x3b29b836, v51, v92 op_sel_hi:[1,0,1] neg_lo:[0,1,0] neg_hi:[0,1,0]
	v_pk_add_f16 v71, v72, v71
	v_pk_fma_f16 v72, 0xbbdd3722, v50, v94 op_sel_hi:[1,0,1] neg_lo:[0,0,1] neg_hi:[0,0,1]
	v_pk_fma_f16 v94, 0xbacdb8d2, v57, v62 op_sel_hi:[1,0,1] neg_lo:[0,0,1] neg_hi:[0,0,1]
	v_add_f16_e32 v58, v58, v36
	v_pk_add_f16 v60, v65, v60
	v_pk_fma_f16 v65, 0x35c8b1e1, v55, v88 op_sel_hi:[1,0,1] neg_lo:[0,1,0] neg_hi:[0,1,0]
	v_pk_add_f16 v71, v72, v71
	v_pk_add_f16 v72, v37, v94 op_sel_hi:[0,1]
	v_pk_fma_f16 v94, 0x3722b461, v56, v64 op_sel_hi:[1,0,1] neg_lo:[0,0,1] neg_hi:[0,0,1]
	v_add_f16_e32 v58, v58, v38
	v_pk_mul_f16 v95, 0xbbf7b5c8, v9 op_sel_hi:[1,0]
	v_pk_fma_f16 v61, 0x2de8bacd, v52, v61 op_sel_hi:[1,0,1] neg_lo:[0,0,1] neg_hi:[0,0,1]
	v_pk_add_f16 v60, v65, v60
	v_pk_add_f16 v65, v72, v94
	v_pk_mul_f16 v94, 0xbacdb8d2, v57 op_sel_hi:[1,0]
	v_add_f16_e32 v58, v58, v39
	v_mul_f16_e32 v79, 0x3b76, v56
	v_pk_fma_f16 v72, 0x2de83b76, v48, v95 op_sel_hi:[1,0,1] neg_lo:[0,0,1] neg_hi:[0,0,1]
	v_pk_add_f16 v61, v61, v71
	v_pk_mul_f16 v71, 0x3722b461, v56 op_sel_hi:[1,0]
	v_bfi_b32 v62, 0xffff, v67, v62
	v_bfi_b32 v76, 0xffff, v76, v94
	v_add_f16_e32 v58, v58, v40
	v_mul_f16_e32 v80, 0xbacd, v48
	v_pk_add_f16 v65, v65, v72
	v_pk_mul_f16 v72, 0x2de83b76, v48 op_sel_hi:[1,0]
	v_pk_mul_f16 v94, 0x3a62b836, v45 op_sel_hi:[1,0]
	v_bfi_b32 v64, 0xffff, v73, v64
	v_bfi_b32 v71, 0xffff, v79, v71
	v_pk_add_f16 v62, v62, v76
	v_add_f16_e32 v58, v58, v41
	v_mul_f16_e32 v81, 0x39e9, v49
	v_pk_mul_f16 v67, 0xb8d2bacd, v49 op_sel_hi:[1,0]
	v_pk_mul_f16 v79, 0xb5c83bf7, v46 op_sel_hi:[1,0]
	v_pk_add_f16 v64, v64, v71
	v_pk_add_f16 v62, v37, v62 op_sel_hi:[0,1]
	v_bfi_b32 v78, 0xffff, v78, v95
	v_bfi_b32 v72, 0xffff, v80, v72
	v_add_f16_e32 v58, v42, v58
	v_pk_fma_f16 v69, 0x3b76b8d2, v53, v69 op_sel_hi:[1,0,1] neg_lo:[0,0,1] neg_hi:[0,0,1]
	v_bfi_b32 v82, 0xffff, v82, v94
	v_pk_fma_f16 v94, 0xb8d2bacd, v49, v94 op_sel_hi:[1,0,1] neg_lo:[0,0,1] neg_hi:[0,0,1]
	v_mul_f16_e32 v83, 0xb8d2, v50
	v_pk_mul_f16 v73, 0x3b762de8, v50 op_sel_hi:[1,0]
	v_pk_mul_f16 v71, 0xb1e1b964, v47 op_sel_hi:[1,0]
	v_pk_add_f16 v62, v62, v64
	v_pk_add_f16 v72, v78, v72
	v_bfi_b32 v67, 0xffff, v81, v67
	v_add_f16_e32 v96, v43, v58
	v_pk_add_f16 v58, v69, v61
	v_pk_add_f16 v61, v94, v65
	v_pk_fma_f16 v65, 0x3b762de8, v50, v79 op_sel_hi:[1,0,1] neg_lo:[0,0,1] neg_hi:[0,0,1]
	v_pk_mul_f16 v80, 0x3964b1e1, v51 op_sel_hi:[1,0]
	v_pk_add_f16 v62, v62, v72
	v_pk_add_f16 v67, v82, v67
	v_bfi_b32 v69, 0xffff, v84, v79
	v_bfi_b32 v72, 0xffff, v83, v73
	v_pk_add_f16 v61, v65, v61
	v_pk_fma_f16 v65, 0xbbdd39e9, v52, v71 op_sel_hi:[1,0,1] neg_lo:[0,0,1] neg_hi:[0,0,1]
	v_pk_fma_f16 v68, 0xb8d239e9, v54, v68 op_sel_hi:[1,0,1] neg_lo:[0,0,1] neg_hi:[0,0,1]
	v_pk_add_f16 v62, v67, v62
	v_pk_add_f16 v67, v69, v72
	v_pk_mul_f16 v72, 0xb461b8d2, v57 op_sel_hi:[1,0]
	v_pk_add_f16 v61, v65, v61
	v_pk_fma_f16 v65, 0x39e9bbdd, v53, v80 op_sel_hi:[1,0,1] neg_lo:[0,0,1] neg_hi:[0,0,1]
	v_pk_add_f16 v57, v68, v58
	v_pk_mul_f16 v56, 0xbacdb461, v56 op_sel_hi:[1,0]
	v_pk_mul_f16 v48, 0x39e93b76, v48 op_sel_hi:[1,0]
	;; [unrolled: 1-line block ×3, first 2 shown]
	v_pk_add_f16 v58, v65, v61
	v_pk_fma_f16 v61, 0xbbb2ba62, v10, v72 op_sel_hi:[1,0,1]
	v_pk_fma_f16 v10, 0xb964b5c8, v10, v66 op_sel_hi:[1,0,1]
	;; [unrolled: 1-line block ×5, first 2 shown]
	v_pk_add_f16 v61, v37, v61 op_sel_hi:[0,1]
	v_pk_add_f16 v10, v37, v10 op_sel_hi:[0,1]
	v_pk_fma_f16 v37, 0xbbf7b964, v44, v74 op_sel_hi:[1,0,1]
	v_mul_f16_e32 v85, 0x3722, v52
	v_pk_mul_f16 v76, 0xbbdd39e9, v52 op_sel_hi:[1,0]
	v_pk_add_f16 v44, v61, v56
	v_mul_f16_e32 v87, 0xb461, v53
	v_pk_add_f16 v10, v10, v37
	v_pk_mul_f16 v95, 0x39e9bbdd, v53 op_sel_hi:[1,0]
	v_bfi_b32 v69, 0xffff, v86, v71
	v_pk_add_f16 v37, v44, v48
	v_pk_fma_f16 v44, 0xbb29b836, v45, v49 op_sel_hi:[1,0,1]
	v_pk_mul_f16 v48, 0xbbdd2de8, v50 op_sel_hi:[1,0]
	v_pk_add_f16 v9, v10, v9
	v_pk_fma_f16 v10, 0xb1e1bbf7, v45, v70 op_sel_hi:[1,0,1]
	v_bfi_b32 v71, 0xffff, v85, v76
	v_pk_add_f16 v37, v44, v37
	v_pk_fma_f16 v44, 0xb1e13bf7, v46, v48 op_sel_hi:[1,0,1]
	v_pk_mul_f16 v45, 0x2de839e9, v52 op_sel_hi:[1,0]
	v_pk_add_f16 v9, v10, v9
	v_pk_fma_f16 v10, 0x3836bbb2, v46, v77 op_sel_hi:[1,0,1]
	v_mul_f16_e32 v90, 0x2de8, v54
	v_pk_mul_f16 v64, 0xb4613722, v54 op_sel_hi:[1,0]
	v_pk_mul_f16 v81, 0xbbb23b29, v55 op_sel_hi:[1,0]
	v_pk_add_f16 v62, v67, v62
	v_pk_add_f16 v67, v69, v71
	v_bfi_b32 v65, 0xffff, v89, v80
	v_bfi_b32 v66, 0xffff, v87, v95
	v_pk_add_f16 v37, v44, v37
	v_pk_fma_f16 v44, 0x3bf7b964, v47, v45 op_sel_hi:[1,0,1]
	v_pk_mul_f16 v45, 0x3b76bbdd, v53 op_sel_hi:[1,0]
	v_pk_add_f16 v9, v10, v9
	v_pk_fma_f16 v10, 0x3bb2ba62, v47, v91 op_sel_hi:[1,0,1]
	v_pk_add_f16 v62, v67, v62
	v_pk_add_f16 v56, v65, v66
	v_bfi_b32 v48, 0xffff, v93, v81
	v_bfi_b32 v46, 0xffff, v90, v64
	v_pk_add_f16 v37, v44, v37
	v_pk_fma_f16 v44, 0xb5c8b1e1, v51, v45 op_sel_hi:[1,0,1]
	v_pk_mul_f16 v45, 0xb8d23722, v54 op_sel_hi:[1,0]
	v_pk_add_f16 v9, v10, v9
	v_pk_fma_f16 v10, 0x3b29b836, v51, v92 op_sel_hi:[1,0,1]
	v_pk_add_f16 v49, v56, v62
	v_pk_add_f16 v46, v48, v46
	;; [unrolled: 1-line block ×3, first 2 shown]
	v_pk_fma_f16 v44, 0xba623b29, v55, v45 op_sel_hi:[1,0,1]
	v_pk_add_f16 v9, v10, v9
	v_pk_fma_f16 v10, 0x35c8b1e1, v55, v88 op_sel_hi:[1,0,1]
	v_mul_u32_u24_e32 v78, 34, v3
	v_pk_fma_f16 v45, 0xb4613722, v54, v81 op_sel_hi:[1,0,1] neg_lo:[0,0,1] neg_hi:[0,0,1]
	v_pk_add_f16 v46, v46, v49
	v_pk_add_f16 v37, v44, v37
	v_alignbit_b32 v56, v7, v60, 16
	v_pk_add_f16 v7, v10, v9
	v_add3_u32 v78, 0, v78, v0
	v_pk_add_f16 v58, v45, v58
	v_pack_b32_f16 v55, v96, v60
	v_alignbit_b32 v45, v37, v46, 16
	v_pack_b32_f16 v44, v59, v46
	v_alignbit_b32 v46, v63, v37, 16
	v_alignbit_b32 v7, v7, v7, 16
	ds_write_b128 v78, v[55:58]
	ds_write_b96 v78, v[44:46] offset:16
	ds_write_b16 v78, v4 offset:28
	ds_write_b32 v78, v7 offset:30
.LBB0_12:
	s_or_b32 exec_lo, exec_lo, s1
	v_sub_f16_e32 v55, v32, v43
	v_add_f16_e32 v50, v27, v11
	v_sub_f16_e32 v54, v33, v42
	v_add_f16_e32 v51, v26, v12
	v_sub_f16_e32 v59, v8, v41
	v_pk_mul_f16 v49, 0xbbf7bb29, v55 op_sel_hi:[1,0]
	v_add_f16_e32 v52, v25, v15
	v_pk_mul_f16 v42, 0xb1e1ba62, v54 op_sel_hi:[1,0]
	v_sub_f16_e32 v58, v31, v40
	v_pk_mul_f16 v46, 0x3bb231e1, v59 op_sel_hi:[1,0]
	v_pk_fma_f16 v7, 0x2de83722, v50, v49 op_sel_hi:[1,0,1] neg_lo:[0,0,1] neg_hi:[0,0,1]
	v_add_f16_e32 v53, v24, v13
	v_pk_fma_f16 v8, 0xbbddb8d2, v51, v42 op_sel_hi:[1,0,1] neg_lo:[0,0,1] neg_hi:[0,0,1]
	v_sub_f16_e32 v61, v28, v39
	v_pk_mul_f16 v44, 0x35c83bb2, v58 op_sel_hi:[1,0]
	v_pk_add_f16 v7, v21, v7 op_sel_hi:[0,1]
	v_pk_fma_f16 v9, 0xb461bbdd, v52, v46 op_sel_hi:[1,0,1] neg_lo:[0,0,1] neg_hi:[0,0,1]
	v_add_f16_e32 v56, v23, v14
	v_pk_mul_f16 v43, 0xbb293964, v61 op_sel_hi:[1,0]
	v_lshlrev_b32_e32 v10, 1, v3
	v_pk_add_f16 v7, v7, v8
	v_pk_fma_f16 v8, 0x3b76b461, v53, v44 op_sel_hi:[1,0,1] neg_lo:[0,0,1] neg_hi:[0,0,1]
	v_sub_f16_e32 v62, v29, v38
	v_pk_fma_f16 v28, 0x372239e9, v56, v43 op_sel_hi:[1,0,1] neg_lo:[0,0,1] neg_hi:[0,0,1]
	v_sub_f16_e32 v63, v30, v36
	v_pk_add_f16 v7, v7, v9
	v_add_nc_u32_e32 v9, 0, v10
	v_sub_f16_e32 v64, v34, v35
	s_waitcnt lgkmcnt(0)
	s_barrier
	v_pk_add_f16 v8, v8, v7
	v_add3_u32 v7, 0, v0, v10
	buffer_gl0_inv
	v_add_f16_e32 v57, v22, v16
	v_pk_mul_f16 v47, 0xb836b5c8, v62 op_sel_hi:[1,0]
	v_pk_add_f16 v48, v28, v8
	v_add_nc_u32_e32 v8, v9, v0
	v_add_f16_e32 v60, v20, v17
	v_pk_mul_f16 v45, 0x3a62bbf7, v63 op_sel_hi:[1,0]
	ds_read_u16 v40, v7
	ds_read_u16 v35, v8 offset:170
	ds_read_u16 v36, v8 offset:340
	;; [unrolled: 1-line block ×13, first 2 shown]
	v_pk_fma_f16 v10, 0xbacd3b76, v57, v47 op_sel_hi:[1,0,1] neg_lo:[0,0,1] neg_hi:[0,0,1]
	v_add_f16_e32 v65, v19, v18
	v_pk_fma_f16 v66, 0xb8d22de8, v60, v45 op_sel_hi:[1,0,1] neg_lo:[0,0,1] neg_hi:[0,0,1]
	s_waitcnt lgkmcnt(0)
	s_barrier
	v_pk_add_f16 v10, v10, v48
	v_pk_mul_f16 v48, 0x3964b836, v64 op_sel_hi:[1,0]
	buffer_gl0_inv
	v_pk_add_f16 v10, v66, v10
	v_pk_fma_f16 v66, 0x39e9bacd, v65, v48 op_sel_hi:[1,0,1] neg_lo:[0,0,1] neg_hi:[0,0,1]
	v_pk_add_f16 v10, v66, v10
	s_and_saveexec_b32 s1, s0
	s_cbranch_execz .LBB0_14
; %bb.13:
	v_add_f16_e32 v27, v21, v27
	v_pack_b32_f16 v55, v55, v55
	v_pack_b32_f16 v66, v50, v50
	;; [unrolled: 1-line block ×4, first 2 shown]
	v_add_f16_e32 v26, v27, v26
	v_pack_b32_f16 v27, v54, v54
	v_perm_b32 v21, v21, v21, 0x5040100
	v_pack_b32_f16 v67, v51, v51
	v_pack_b32_f16 v59, v59, v59
	v_add_f16_e32 v25, v26, v25
	v_pack_b32_f16 v26, v58, v58
	v_pack_b32_f16 v58, v56, v56
	v_pack_b32_f16 v54, v52, v52
	v_pack_b32_f16 v70, v65, v65
	v_add_f16_e32 v24, v25, v24
	v_pack_b32_f16 v25, v62, v62
	v_pack_b32_f16 v62, v60, v60
	v_pk_mul_f16 v50, 0x2de83722, v50 op_sel_hi:[1,0]
	v_pack_b32_f16 v61, v61, v61
	v_add_f16_e32 v23, v24, v23
	v_pack_b32_f16 v24, v64, v64
	v_pk_mul_f16 v64, 0xbbf7b964, v27
	v_pack_b32_f16 v63, v63, v63
	v_pk_mul_f16 v71, 0x3836bbb2, v61
	v_add_f16_e32 v22, v23, v22
	v_pk_mul_f16 v23, 0x3b76b461, v53 op_sel_hi:[1,0]
	v_pk_mul_f16 v53, 0x372239e9, v56 op_sel_hi:[1,0]
	;; [unrolled: 1-line block ×4, first 2 shown]
	v_add_f16_e32 v20, v22, v20
	v_pk_mul_f16 v60, 0xb964b5c8, v55
	v_pk_mul_f16 v22, 0x39e9bacd, v65 op_sel_hi:[1,0]
	v_pk_mul_f16 v65, 0xba62bb29, v59
	v_pk_fma_f16 v75, 0x2de839e9, v67, v64
	v_add_f16_e32 v19, v20, v19
	v_pk_fma_f16 v73, 0x39e93b76, v66, v60
	v_pk_mul_f16 v20, 0xb1e1bbf7, v26
	v_pk_fma_f16 v64, 0x2de839e9, v67, v64 neg_lo:[0,0,1] neg_hi:[0,0,1]
	v_pk_mul_f16 v72, 0x3bb2ba62, v25
	v_add_f16_e32 v18, v19, v18
	v_pk_add_f16 v73, v21, v73
	v_pk_mul_f16 v19, 0x3b29b836, v63
	v_pk_mul_f16 v51, 0xbbddb8d2, v51 op_sel_hi:[1,0]
	v_pk_mul_f16 v74, 0x35c8b1e1, v24
	v_add_f16_e32 v17, v18, v17
	v_pk_add_f16 v18, v50, v49
	v_pk_fma_f16 v49, 0xb8d23722, v54, v65
	v_pk_fma_f16 v50, 0x39e93b76, v66, v60 neg_lo:[0,0,1] neg_hi:[0,0,1]
	v_pk_add_f16 v60, v73, v75
	v_add_f16_e32 v16, v17, v16
	v_pk_fma_f16 v17, 0xbbdd2de8, v68, v20
	v_pk_fma_f16 v20, 0xbbdd2de8, v68, v20 neg_lo:[0,0,1] neg_hi:[0,0,1]
	v_pk_add_f16 v50, v21, v50
	v_pk_add_f16 v49, v60, v49
	v_add_f16_e32 v14, v16, v14
	v_pk_fma_f16 v16, 0xbacdb461, v58, v71
	v_pk_fma_f16 v60, 0xb8d23722, v54, v65 neg_lo:[0,0,1] neg_hi:[0,0,1]
	v_pk_add_f16 v50, v50, v64
	v_pk_add_f16 v17, v17, v49
	v_add_f16_e32 v13, v14, v13
	v_pk_fma_f16 v14, 0xb461b8d2, v69, v72
	v_pk_mul_f16 v52, 0xb461bbdd, v52 op_sel_hi:[1,0]
	v_pk_add_f16 v49, v50, v60
	v_pk_add_f16 v16, v16, v17
	v_add_f16_e32 v13, v13, v15
	v_pk_fma_f16 v15, 0x3722bacd, v62, v19
	v_pk_fma_f16 v17, 0xbacdb461, v58, v71 neg_lo:[0,0,1] neg_hi:[0,0,1]
	v_pk_add_f16 v20, v20, v49
	v_pk_add_f16 v14, v14, v16
	v_add_f16_e32 v12, v12, v13
	v_pk_fma_f16 v13, 0x3b76bbdd, v70, v74
	v_pk_fma_f16 v16, 0xb461b8d2, v69, v72 neg_lo:[0,0,1] neg_hi:[0,0,1]
	v_pk_add_f16 v17, v17, v20
	v_pk_add_f16 v14, v15, v14
	v_pk_add_f16 v15, v21, v18
	v_pk_add_f16 v18, v51, v42
	v_add_f16_e32 v20, v11, v12
	v_pk_mul_f16 v12, 0xba62bbb2, v55
	v_pk_add_f16 v11, v13, v14
	v_pk_add_f16 v13, v16, v17
	;; [unrolled: 1-line block ×4, first 2 shown]
	v_pk_fma_f16 v14, 0xb8d2b461, v66, v12
	v_pk_mul_f16 v16, 0x3bb23836, v27
	v_pk_fma_f16 v12, 0xb8d2b461, v66, v12 neg_lo:[0,0,1] neg_hi:[0,0,1]
	v_pk_fma_f16 v18, 0x3722bacd, v62, v19 neg_lo:[0,0,1] neg_hi:[0,0,1]
	v_pk_add_f16 v15, v15, v17
	v_pk_add_f16 v17, v23, v44
	;; [unrolled: 1-line block ×3, first 2 shown]
	v_pk_fma_f16 v19, 0xb461bacd, v67, v16
	v_pk_mul_f16 v42, 0xb5c83964, v59
	v_pk_add_f16 v12, v21, v12
	v_pk_add_f16 v15, v17, v15
	;; [unrolled: 1-line block ×3, first 2 shown]
	v_pk_fma_f16 v16, 0xb461bacd, v67, v16 neg_lo:[0,0,1] neg_hi:[0,0,1]
	v_pk_add_f16 v13, v18, v13
	v_pk_add_f16 v14, v14, v19
	v_pk_fma_f16 v18, 0x3b7639e9, v54, v42
	v_pk_add_f16 v15, v17, v15
	v_pk_add_f16 v17, v56, v47
	v_pk_mul_f16 v19, 0xb836bb29, v26
	v_pk_add_f16 v16, v12, v16
	v_pk_add_f16 v14, v14, v18
	v_pk_mul_f16 v43, 0x3bf7b1e1, v61
	v_pk_add_f16 v15, v17, v15
	v_pk_add_f16 v17, v57, v45
	v_pk_fma_f16 v18, 0xbacd3722, v68, v19
	v_pk_fma_f16 v23, 0x3b76bbdd, v70, v74 neg_lo:[0,0,1] neg_hi:[0,0,1]
	v_pk_mul_f16 v26, 0x39643a62, v26
	v_pk_mul_f16 v44, 0xb1e1b5c8, v63
	v_pk_add_f16 v15, v17, v15
	v_pk_add_f16 v17, v22, v48
	v_pk_fma_f16 v22, 0x3b7639e9, v54, v42 neg_lo:[0,0,1] neg_hi:[0,0,1]
	v_pk_mul_f16 v42, 0xb836bbf7, v59
	v_pk_add_f16 v23, v23, v13
	v_pk_add_f16 v13, v18, v14
	;; [unrolled: 1-line block ×3, first 2 shown]
	v_pk_mul_f16 v15, 0xb1e1b836, v55
	v_pk_add_f16 v16, v16, v22
	v_pk_fma_f16 v17, 0xbacd3722, v68, v19 neg_lo:[0,0,1] neg_hi:[0,0,1]
	v_pk_mul_f16 v22, 0x35c83b29, v27
	v_pk_fma_f16 v14, 0x2de8bbdd, v58, v43
	v_pk_fma_f16 v19, 0xbbddbacd, v66, v15 neg_lo:[0,0,1] neg_hi:[0,0,1]
	v_pk_fma_f16 v15, 0xbbddbacd, v66, v15
	v_pk_add_f16 v16, v17, v16
	v_pk_mul_f16 v18, 0xb9643bf7, v25
	v_pk_add_f16 v13, v14, v13
	v_pk_add_f16 v17, v21, v19
	v_pk_fma_f16 v19, 0x3b763722, v67, v22 neg_lo:[0,0,1] neg_hi:[0,0,1]
	v_pk_add_f16 v15, v21, v15
	v_pk_fma_f16 v21, 0x3b763722, v67, v22
	v_pk_fma_f16 v22, 0x2de8bbdd, v58, v43 neg_lo:[0,0,1] neg_hi:[0,0,1]
	v_pk_fma_f16 v14, 0x39e92de8, v69, v18
	v_pk_add_f16 v17, v17, v19
	v_pk_fma_f16 v19, 0xbacd2de8, v54, v42 neg_lo:[0,0,1] neg_hi:[0,0,1]
	v_pk_add_f16 v15, v15, v21
	v_pk_fma_f16 v21, 0xbacd2de8, v54, v42
	v_pk_add_f16 v16, v22, v16
	v_pk_mul_f16 v22, 0xba62b5c8, v61
	v_pk_add_f16 v17, v17, v19
	v_pk_fma_f16 v19, 0x39e9b8d2, v68, v26 neg_lo:[0,0,1] neg_hi:[0,0,1]
	v_pk_add_f16 v15, v15, v21
	v_pk_fma_f16 v21, 0x39e9b8d2, v68, v26
	v_pk_fma_f16 v18, 0x39e92de8, v69, v18 neg_lo:[0,0,1] neg_hi:[0,0,1]
	v_pk_mul_f16 v25, 0x3b29b1e1, v25
	v_pk_add_f16 v17, v19, v17
	v_pk_fma_f16 v19, 0xb8d23b76, v58, v22 neg_lo:[0,0,1] neg_hi:[0,0,1]
	v_pk_add_f16 v15, v21, v15
	v_pk_fma_f16 v21, 0xb8d23b76, v58, v22
	v_pk_add_f16 v13, v14, v13
	v_pk_fma_f16 v14, 0xbbdd3b76, v62, v44
	v_pk_add_f16 v16, v18, v16
	v_pk_add_f16 v17, v19, v17
	v_pk_fma_f16 v18, 0x3722bbdd, v69, v25 neg_lo:[0,0,1] neg_hi:[0,0,1]
	v_pk_mul_f16 v19, 0xbbb23964, v63
	v_pk_add_f16 v15, v21, v15
	v_pk_fma_f16 v21, 0x3722bbdd, v69, v25
	v_pk_add_f16 v13, v14, v13
	v_pk_mul_f16 v14, 0x3b29ba62, v24
	v_pk_fma_f16 v22, 0xbbdd3b76, v62, v44 neg_lo:[0,0,1] neg_hi:[0,0,1]
	v_pk_add_f16 v17, v18, v17
	v_pk_fma_f16 v18, 0xb46139e9, v62, v19 neg_lo:[0,0,1] neg_hi:[0,0,1]
	v_pk_mul_f16 v24, 0x3bf7bbb2, v24
	v_pk_add_f16 v15, v21, v15
	v_pk_fma_f16 v19, 0xb46139e9, v62, v19
	v_pk_fma_f16 v27, 0x3722b8d2, v70, v14
	v_pk_add_f16 v16, v22, v16
	v_pk_add_f16 v17, v18, v17
	v_pk_fma_f16 v18, 0x2de8b461, v70, v24 neg_lo:[0,0,1] neg_hi:[0,0,1]
	v_pk_fma_f16 v14, 0x3722b8d2, v70, v14 neg_lo:[0,0,1] neg_hi:[0,0,1]
	v_lshlrev_b32_e32 v21, 5, v3
	v_pk_add_f16 v15, v19, v15
	v_pk_fma_f16 v19, 0x2de8b461, v70, v24
	v_pk_add_f16 v17, v18, v17
	v_pk_add_f16 v16, v14, v16
	v_add3_u32 v9, v9, v21, v0
	v_pk_add_f16 v13, v27, v13
	v_pk_add_f16 v14, v19, v15
	v_alignbit_b32 v15, v17, v17, 16
	v_alignbit_b32 v16, v16, v16, 16
	;; [unrolled: 1-line block ×4, first 2 shown]
	ds_write_b16 v9, v20
	ds_write_b128 v9, v[11:14] offset:2
	ds_write_b128 v9, v[15:18] offset:18
.LBB0_14:
	s_or_b32 exec_lo, exec_lo, s1
	v_add_nc_u32_e32 v9, 0x55, v3
	v_and_b32_e32 v13, 0xff, v3
	v_add_nc_u16 v15, v3, 0xaa
	v_add_nc_u32_e32 v11, 0xff, v3
	v_add_nc_u32_e32 v12, 0x154, v3
	v_and_b32_e32 v14, 0xff, v9
	v_mul_lo_u16 v24, 0xf1, v13
	v_and_b32_e32 v20, 0xff, v15
	v_mov_b32_e32 v13, 0xf0f1
	v_add_nc_u32_e32 v16, 0x1a9, v3
	v_mul_lo_u16 v21, 0xf1, v14
	v_lshrrev_b16 v18, 12, v24
	v_add_nc_u32_e32 v17, 0x1fe, v3
	v_mul_lo_u16 v22, 0xf1, v20
	v_mul_u32_u24_sdwa v26, v11, v13 dst_sel:DWORD dst_unused:UNUSED_PAD src0_sel:WORD_0 src1_sel:DWORD
	v_lshrrev_b16 v19, 12, v21
	v_mul_lo_u16 v23, v18, 17
	v_mul_u32_u24_sdwa v27, v12, v13 dst_sel:DWORD dst_unused:UNUSED_PAD src0_sel:WORD_0 src1_sel:DWORD
	v_lshrrev_b16 v60, 12, v22
	v_lshrrev_b32_e32 v26, 20, v26
	v_mul_lo_u16 v25, v19, 17
	v_sub_nc_u16 v20, v3, v23
	v_lshrrev_b32_e32 v27, 20, v27
	v_mov_b32_e32 v14, 2
	v_mul_lo_u16 v44, v26, 17
	v_sub_nc_u16 v23, v9, v25
	v_mul_u32_u24_sdwa v25, v16, v13 dst_sel:DWORD dst_unused:UNUSED_PAD src0_sel:WORD_0 src1_sel:DWORD
	v_mul_u32_u24_sdwa v13, v17, v13 dst_sel:DWORD dst_unused:UNUSED_PAD src0_sel:WORD_0 src1_sel:DWORD
	v_mul_lo_u16 v45, v27, 17
	v_lshlrev_b32_sdwa v42, v14, v20 dst_sel:DWORD dst_unused:UNUSED_PAD src0_sel:DWORD src1_sel:BYTE_0
	v_sub_nc_u16 v63, v11, v44
	v_lshrrev_b32_e32 v25, 20, v25
	v_lshrrev_b32_e32 v61, 20, v13
	v_mul_lo_u16 v13, v60, 17
	v_sub_nc_u16 v12, v12, v45
	s_load_dwordx2 s[2:3], s[2:3], 0x0
	v_mul_lo_u16 v46, v25, 17
	v_mul_lo_u16 v47, v61, 17
	v_sub_nc_u16 v62, v15, v13
	s_waitcnt lgkmcnt(0)
	s_barrier
	v_sub_nc_u16 v16, v16, v46
	buffer_gl0_inv
	v_lshlrev_b32_sdwa v43, v14, v23 dst_sel:DWORD dst_unused:UNUSED_PAD src0_sel:DWORD src1_sel:BYTE_0
	v_sub_nc_u16 v17, v17, v47
	global_load_dword v49, v42, s[12:13]
	v_lshlrev_b32_sdwa v11, v14, v62 dst_sel:DWORD dst_unused:UNUSED_PAD src0_sel:DWORD src1_sel:BYTE_0
	v_lshlrev_b32_sdwa v13, v14, v63 dst_sel:DWORD dst_unused:UNUSED_PAD src0_sel:DWORD src1_sel:WORD_0
	v_lshlrev_b32_sdwa v42, v14, v12 dst_sel:DWORD dst_unused:UNUSED_PAD src0_sel:DWORD src1_sel:WORD_0
	;; [unrolled: 1-line block ×4, first 2 shown]
	s_clause 0x5
	global_load_dword v51, v43, s[12:13]
	global_load_dword v52, v11, s[12:13]
	;; [unrolled: 1-line block ×6, first 2 shown]
	ds_read_u16 v44, v7
	ds_read_u16 v45, v8 offset:170
	ds_read_u16 v11, v8 offset:340
	;; [unrolled: 1-line block ×13, first 2 shown]
	v_mov_b32_e32 v65, 1
	v_and_b32_e32 v18, 0xffff, v18
	v_and_b32_e32 v60, 0xffff, v60
	;; [unrolled: 1-line block ×3, first 2 shown]
	v_mad_u32_u24 v27, 0x44, v27, 0
	v_lshlrev_b32_sdwa v20, v65, v20 dst_sel:DWORD dst_unused:UNUSED_PAD src0_sel:DWORD src1_sel:BYTE_0
	v_mad_u32_u24 v18, 0x44, v18, 0
	v_lshlrev_b32_sdwa v12, v65, v12 dst_sel:DWORD dst_unused:UNUSED_PAD src0_sel:DWORD src1_sel:WORD_0
	v_mad_u32_u24 v25, 0x44, v25, 0
	v_lshlrev_b32_sdwa v16, v65, v16 dst_sel:DWORD dst_unused:UNUSED_PAD src0_sel:DWORD src1_sel:WORD_0
	v_mad_u32_u24 v26, 0x44, v26, 0
	v_mad_u32_u24 v66, 0x44, v61, 0
	;; [unrolled: 1-line block ×3, first 2 shown]
	v_lshlrev_b32_sdwa v60, v65, v63 dst_sel:DWORD dst_unused:UNUSED_PAD src0_sel:DWORD src1_sel:WORD_0
	v_lshlrev_b32_sdwa v17, v65, v17 dst_sel:DWORD dst_unused:UNUSED_PAD src0_sel:DWORD src1_sel:WORD_0
	v_mad_u32_u24 v19, 0x44, v19, 0
	v_add3_u32 v64, v18, v20, v0
	v_lshlrev_b32_sdwa v18, v65, v23 dst_sel:DWORD dst_unused:UNUSED_PAD src0_sel:DWORD src1_sel:BYTE_0
	v_lshlrev_b32_sdwa v20, v65, v62 dst_sel:DWORD dst_unused:UNUSED_PAD src0_sel:DWORD src1_sel:BYTE_0
	v_add3_u32 v62, v27, v12, v0
	v_add3_u32 v61, v25, v16, v0
	;; [unrolled: 1-line block ×6, first 2 shown]
	s_waitcnt vmcnt(0) lgkmcnt(0)
	s_barrier
	buffer_gl0_inv
	v_cmp_gt_u32_e64 s0, 0x44, v3
	v_mul_f16_sdwa v12, v56, v49 dst_sel:DWORD dst_unused:UNUSED_PAD src0_sel:DWORD src1_sel:WORD_1
	v_mul_f16_sdwa v16, v58, v51 dst_sel:DWORD dst_unused:UNUSED_PAD src0_sel:DWORD src1_sel:WORD_1
	;; [unrolled: 1-line block ×5, first 2 shown]
	v_fma_f16 v12, v33, v49, -v12
	v_mul_f16_sdwa v20, v54, v47 dst_sel:DWORD dst_unused:UNUSED_PAD src0_sel:DWORD src1_sel:WORD_1
	v_mul_f16_sdwa v23, v55, v48 dst_sel:DWORD dst_unused:UNUSED_PAD src0_sel:DWORD src1_sel:WORD_1
	v_fma_f16 v16, v34, v51, -v16
	v_fma_f16 v17, v32, v52, -v17
	;; [unrolled: 1-line block ×4, first 2 shown]
	v_sub_f16_e32 v12, v40, v12
	v_fma_f16 v20, v29, v47, -v20
	v_fma_f16 v23, v28, v48, -v23
	v_sub_f16_e32 v16, v35, v16
	v_sub_f16_e32 v17, v36, v17
	;; [unrolled: 1-line block ×4, first 2 shown]
	v_fma_f16 v25, v40, 2.0, -v12
	v_sub_f16_e32 v19, v39, v20
	v_sub_f16_e32 v18, v41, v23
	v_fma_f16 v23, v35, 2.0, -v16
	v_fma_f16 v35, v36, 2.0, -v17
	;; [unrolled: 1-line block ×4, first 2 shown]
	ds_write_b16 v64, v12 offset:34
	v_fma_f16 v12, v39, 2.0, -v19
	v_fma_f16 v20, v41, 2.0, -v18
	ds_write_b16 v64, v25
	ds_write_b16 v66, v16 offset:34
	ds_write_b16 v66, v23
	ds_write_b16 v65, v35
	ds_write_b16 v65, v17 offset:34
	ds_write_b16 v63, v36
	ds_write_b16 v63, v26 offset:34
	;; [unrolled: 2-line block ×5, first 2 shown]
	s_waitcnt lgkmcnt(0)
	s_barrier
	buffer_gl0_inv
	ds_read_u16 v16, v7
	ds_read_u16 v23, v8 offset:1598
	ds_read_u16 v35, v8 offset:1428
	;; [unrolled: 1-line block ×9, first 2 shown]
	s_and_saveexec_b32 s1, s0
	s_cbranch_execz .LBB0_16
; %bb.15:
	ds_read_u16 v12, v8 offset:340
	ds_read_u16 v19, v8 offset:816
	;; [unrolled: 1-line block ×5, first 2 shown]
.LBB0_16:
	s_or_b32 exec_lo, exec_lo, s1
	v_mul_f16_sdwa v33, v33, v49 dst_sel:DWORD dst_unused:UNUSED_PAD src0_sel:DWORD src1_sel:WORD_1
	v_mul_f16_sdwa v34, v34, v51 dst_sel:DWORD dst_unused:UNUSED_PAD src0_sel:DWORD src1_sel:WORD_1
	;; [unrolled: 1-line block ×5, first 2 shown]
	v_fmac_f16_e32 v33, v56, v49
	v_mul_f16_sdwa v29, v29, v47 dst_sel:DWORD dst_unused:UNUSED_PAD src0_sel:DWORD src1_sel:WORD_1
	v_mul_f16_sdwa v28, v28, v48 dst_sel:DWORD dst_unused:UNUSED_PAD src0_sel:DWORD src1_sel:WORD_1
	v_fmac_f16_e32 v34, v58, v51
	v_fmac_f16_e32 v32, v59, v52
	;; [unrolled: 1-line block ×4, first 2 shown]
	v_sub_f16_e32 v33, v44, v33
	v_fmac_f16_e32 v29, v54, v47
	v_fmac_f16_e32 v28, v55, v48
	v_sub_f16_e32 v34, v45, v34
	v_sub_f16_e32 v32, v11, v32
	;; [unrolled: 1-line block ×4, first 2 shown]
	v_fma_f16 v39, v44, 2.0, -v33
	v_sub_f16_e32 v40, v42, v29
	v_sub_f16_e32 v41, v43, v28
	v_fma_f16 v44, v45, 2.0, -v34
	v_fma_f16 v28, v11, 2.0, -v32
	;; [unrolled: 1-line block ×6, first 2 shown]
	s_waitcnt lgkmcnt(0)
	s_barrier
	buffer_gl0_inv
	ds_write_b16 v64, v39
	ds_write_b16 v64, v33 offset:34
	ds_write_b16 v66, v44
	ds_write_b16 v66, v34 offset:34
	ds_write_b16 v65, v28
	ds_write_b16 v65, v32 offset:34
	ds_write_b16 v63, v13
	ds_write_b16 v63, v31 offset:34
	ds_write_b16 v62, v14
	ds_write_b16 v62, v30 offset:34
	ds_write_b16 v61, v11
	ds_write_b16 v61, v40 offset:34
	ds_write_b16 v60, v42
	ds_write_b16 v60, v41 offset:34
	s_waitcnt lgkmcnt(0)
	s_barrier
	buffer_gl0_inv
	ds_read_u16 v13, v7
	ds_read_u16 v43, v8 offset:1598
	ds_read_u16 v47, v8 offset:1428
	;; [unrolled: 1-line block ×9, first 2 shown]
	s_and_saveexec_b32 s1, s0
	s_cbranch_execz .LBB0_18
; %bb.17:
	ds_read_u16 v11, v8 offset:340
	ds_read_u16 v40, v8 offset:816
	;; [unrolled: 1-line block ×5, first 2 shown]
.LBB0_18:
	s_or_b32 exec_lo, exec_lo, s1
	v_lshrrev_b16 v24, 13, v24
	v_lshrrev_b16 v21, 13, v21
	;; [unrolled: 1-line block ×3, first 2 shown]
	v_mov_b32_e32 v29, 4
	v_mov_b32_e32 v55, 1
	v_mul_lo_u16 v28, v24, 34
	v_and_b32_e32 v24, 0xffff, v24
	v_sub_nc_u16 v30, v3, v28
	v_mul_lo_u16 v28, v21, 34
	v_and_b32_e32 v21, 0xffff, v21
	v_lshlrev_b32_sdwa v31, v29, v30 dst_sel:DWORD dst_unused:UNUSED_PAD src0_sel:DWORD src1_sel:BYTE_0
	v_sub_nc_u16 v32, v9, v28
	v_mul_lo_u16 v28, v22, 34
	v_mad_u32_u24 v21, 0x154, v21, 0
	global_load_dwordx4 v[56:59], v31, s[12:13] offset:68
	v_sub_nc_u16 v15, v15, v28
	v_lshlrev_b32_sdwa v28, v29, v15 dst_sel:DWORD dst_unused:UNUSED_PAD src0_sel:DWORD src1_sel:BYTE_0
	global_load_dwordx4 v[64:67], v28, s[12:13] offset:68
	v_lshlrev_b32_sdwa v31, v29, v32 dst_sel:DWORD dst_unused:UNUSED_PAD src0_sel:DWORD src1_sel:BYTE_0
	v_and_b32_e32 v28, 0xffff, v22
	v_mad_u32_u24 v22, 0x154, v24, 0
	v_lshlrev_b32_sdwa v24, v55, v30 dst_sel:DWORD dst_unused:UNUSED_PAD src0_sel:DWORD src1_sel:BYTE_0
	v_lshlrev_b32_sdwa v29, v55, v32 dst_sel:DWORD dst_unused:UNUSED_PAD src0_sel:DWORD src1_sel:BYTE_0
	global_load_dwordx4 v[60:63], v31, s[12:13] offset:68
	s_waitcnt vmcnt(0) lgkmcnt(0)
	s_barrier
	v_add3_u32 v34, v22, v24, v0
	v_add3_u32 v33, v21, v29, v0
	buffer_gl0_inv
	v_mul_f16_sdwa v53, v38, v56 dst_sel:DWORD dst_unused:UNUSED_PAD src0_sel:DWORD src1_sel:WORD_1
	v_mul_f16_sdwa v69, v48, v57 dst_sel:DWORD dst_unused:UNUSED_PAD src0_sel:DWORD src1_sel:WORD_1
	;; [unrolled: 1-line block ×8, first 2 shown]
	v_fmac_f16_e32 v53, v50, v56
	v_fma_f16 v50, v36, v57, -v69
	v_fmac_f16_e32 v54, v48, v57
	v_fma_f16 v48, v35, v58, -v70
	v_mul_f16_sdwa v78, v41, v66 dst_sel:DWORD dst_unused:UNUSED_PAD src0_sel:DWORD src1_sel:WORD_1
	v_mul_f16_sdwa v30, v20, v65 dst_sel:DWORD dst_unused:UNUSED_PAD src0_sel:DWORD src1_sel:WORD_1
	v_fma_f16 v38, v38, v56, -v68
	v_fmac_f16_e32 v51, v47, v58
	v_fma_f16 v47, v37, v59, -v71
	v_mul_f16_sdwa v29, v19, v64 dst_sel:DWORD dst_unused:UNUSED_PAD src0_sel:DWORD src1_sel:WORD_1
	v_mul_f16_sdwa v72, v46, v60 dst_sel:DWORD dst_unused:UNUSED_PAD src0_sel:DWORD src1_sel:WORD_1
	;; [unrolled: 1-line block ×11, first 2 shown]
	v_fma_f16 v27, v27, v60, -v72
	v_fma_f16 v25, v25, v61, -v73
	;; [unrolled: 1-line block ×4, first 2 shown]
	v_mul_f16_sdwa v76, v40, v64 dst_sel:DWORD dst_unused:UNUSED_PAD src0_sel:DWORD src1_sel:WORD_1
	v_fmac_f16_e32 v52, v49, v59
	v_fma_f16 v36, v18, v66, -v78
	v_add_f16_e32 v18, v50, v48
	v_mul_f16_sdwa v77, v42, v65 dst_sel:DWORD dst_unused:UNUSED_PAD src0_sel:DWORD src1_sel:WORD_1
	v_fmac_f16_e32 v30, v42, v65
	v_add_f16_e32 v42, v38, v47
	v_mul_f16_sdwa v79, v10, v67 dst_sel:DWORD dst_unused:UNUSED_PAD src0_sel:DWORD src1_sel:WORD_1
	v_fmac_f16_e32 v21, v46, v60
	v_fmac_f16_e32 v22, v44, v61
	;; [unrolled: 1-line block ×7, first 2 shown]
	v_add_f16_e32 v10, v16, v38
	v_sub_f16_e32 v40, v38, v50
	v_sub_f16_e32 v41, v47, v48
	;; [unrolled: 1-line block ×4, first 2 shown]
	v_add_f16_e32 v46, v25, v23
	v_add_f16_e32 v59, v27, v26
	v_fma_f16 v37, v19, v64, -v76
	v_sub_f16_e32 v19, v53, v52
	v_fma_f16 v18, -0.5, v18, v16
	v_fma_f16 v35, v20, v65, -v77
	v_sub_f16_e32 v20, v54, v51
	v_sub_f16_e32 v57, v27, v25
	;; [unrolled: 1-line block ×3, first 2 shown]
	v_fmac_f16_e32 v16, -0.5, v42
	v_add_f16_e32 v45, v17, v27
	v_sub_f16_e32 v49, v21, v39
	v_sub_f16_e32 v56, v22, v24
	v_add_f16_e32 v10, v10, v50
	v_add_f16_e32 v40, v40, v41
	;; [unrolled: 1-line block ×3, first 2 shown]
	v_fma_f16 v43, -0.5, v46, v17
	v_fmac_f16_e32 v17, -0.5, v59
	v_fmamk_f16 v46, v19, 0x3b9c, v18
	v_add_f16_e32 v44, v57, v58
	v_fmamk_f16 v57, v20, 0xbb9c, v16
	v_fmac_f16_e32 v16, 0x3b9c, v20
	v_fmac_f16_e32 v18, 0xbb9c, v19
	v_sub_f16_e32 v60, v25, v27
	v_sub_f16_e32 v61, v23, v26
	v_add_f16_e32 v42, v45, v25
	v_add_f16_e32 v10, v10, v48
	v_fmamk_f16 v58, v49, 0x3b9c, v43
	v_fmac_f16_e32 v43, 0xbb9c, v49
	v_fmamk_f16 v59, v56, 0xbb9c, v17
	v_fmac_f16_e32 v17, 0x3b9c, v56
	v_fmac_f16_e32 v46, 0x38b4, v20
	;; [unrolled: 1-line block ×5, first 2 shown]
	v_fma_f16 v4, v4, v67, -v79
	v_add_f16_e32 v45, v60, v61
	v_add_f16_e32 v42, v42, v23
	;; [unrolled: 1-line block ×3, first 2 shown]
	v_fmac_f16_e32 v58, 0x38b4, v56
	v_fmac_f16_e32 v43, 0xb8b4, v56
	;; [unrolled: 1-line block ×8, first 2 shown]
	v_add_f16_e32 v19, v42, v26
	v_fmac_f16_e32 v58, 0x34f2, v44
	v_fmac_f16_e32 v43, 0x34f2, v44
	;; [unrolled: 1-line block ×4, first 2 shown]
	ds_write_b16 v34, v10
	ds_write_b16 v34, v46 offset:68
	ds_write_b16 v34, v57 offset:136
	;; [unrolled: 1-line block ×4, first 2 shown]
	ds_write_b16 v33, v19
	ds_write_b16 v33, v58 offset:68
	ds_write_b16 v33, v59 offset:136
	;; [unrolled: 1-line block ×4, first 2 shown]
	s_and_saveexec_b32 s1, s0
	s_cbranch_execz .LBB0_20
; %bb.19:
	v_add_f16_e32 v10, v37, v4
	v_add_f16_e32 v20, v35, v36
	v_sub_f16_e32 v16, v35, v37
	v_sub_f16_e32 v17, v36, v4
	v_add_f16_e32 v41, v12, v37
	v_sub_f16_e32 v19, v29, v32
	v_fma_f16 v10, -0.5, v10, v12
	v_fma_f16 v12, -0.5, v20, v12
	v_sub_f16_e32 v18, v30, v31
	v_sub_f16_e32 v40, v37, v35
	;; [unrolled: 1-line block ×3, first 2 shown]
	v_add_f16_e32 v16, v16, v17
	v_add_f16_e32 v17, v41, v35
	v_fmamk_f16 v20, v19, 0xbb9c, v12
	v_fmac_f16_e32 v12, 0x3b9c, v19
	v_fmamk_f16 v43, v18, 0x3b9c, v10
	v_fmac_f16_e32 v10, 0xbb9c, v18
	v_add_f16_e32 v40, v40, v42
	v_add_f16_e32 v17, v17, v36
	v_mad_u32_u24 v41, 0x154, v28, 0
	v_lshlrev_b32_sdwa v42, v55, v15 dst_sel:DWORD dst_unused:UNUSED_PAD src0_sel:DWORD src1_sel:BYTE_0
	v_fmac_f16_e32 v12, 0x38b4, v18
	v_fmac_f16_e32 v10, 0x38b4, v19
	;; [unrolled: 1-line block ×4, first 2 shown]
	v_add_f16_e32 v17, v17, v4
	v_add3_u32 v18, v41, v42, v0
	v_fmac_f16_e32 v12, 0x34f2, v40
	v_fmac_f16_e32 v10, 0x34f2, v16
	;; [unrolled: 1-line block ×4, first 2 shown]
	ds_write_b16 v18, v17
	ds_write_b16 v18, v12 offset:68
	ds_write_b16 v18, v10 offset:136
	;; [unrolled: 1-line block ×4, first 2 shown]
.LBB0_20:
	s_or_b32 exec_lo, exec_lo, s1
	v_add_f16_e32 v10, v54, v51
	v_add_f16_e32 v12, v13, v53
	v_sub_f16_e32 v16, v38, v47
	v_sub_f16_e32 v18, v53, v54
	v_sub_f16_e32 v19, v52, v51
	v_fma_f16 v38, -0.5, v10, v13
	v_add_f16_e32 v10, v53, v52
	v_add_f16_e32 v12, v12, v54
	v_sub_f16_e32 v17, v50, v48
	v_sub_f16_e32 v20, v54, v53
	v_fmamk_f16 v40, v16, 0xbb9c, v38
	v_fmac_f16_e32 v13, -0.5, v10
	v_add_f16_e32 v10, v18, v19
	v_add_f16_e32 v12, v12, v51
	v_fmac_f16_e32 v38, 0x3b9c, v16
	v_sub_f16_e32 v18, v51, v52
	v_fmac_f16_e32 v40, 0xb8b4, v17
	v_fmamk_f16 v41, v17, 0x3b9c, v13
	v_add_f16_e32 v42, v12, v52
	v_fmac_f16_e32 v38, 0x38b4, v17
	v_add_f16_e32 v12, v20, v18
	v_fmac_f16_e32 v13, 0xbb9c, v17
	v_add_f16_e32 v17, v14, v21
	v_add_f16_e32 v18, v22, v24
	v_fmac_f16_e32 v40, 0x34f2, v10
	v_fmac_f16_e32 v41, 0xb8b4, v16
	;; [unrolled: 1-line block ×4, first 2 shown]
	v_add_f16_e32 v10, v17, v22
	v_fma_f16 v43, -0.5, v18, v14
	v_add_f16_e32 v16, v21, v39
	v_sub_f16_e32 v44, v27, v26
	v_fmac_f16_e32 v41, 0x34f2, v12
	v_fmac_f16_e32 v13, 0x34f2, v12
	v_add_f16_e32 v45, v10, v24
	v_sub_f16_e32 v10, v25, v23
	v_fmac_f16_e32 v14, -0.5, v16
	v_fmamk_f16 v46, v44, 0xbb9c, v43
	v_sub_f16_e32 v12, v21, v22
	v_sub_f16_e32 v16, v39, v24
	v_fmac_f16_e32 v43, 0x3b9c, v44
	v_sub_f16_e32 v17, v22, v21
	v_sub_f16_e32 v18, v24, v39
	v_fmamk_f16 v47, v10, 0x3b9c, v14
	v_fmac_f16_e32 v46, 0xb8b4, v10
	v_add_f16_e32 v48, v12, v16
	v_fmac_f16_e32 v43, 0x38b4, v10
	v_add_f16_e32 v49, v17, v18
	v_fmac_f16_e32 v14, 0xbb9c, v10
	s_waitcnt lgkmcnt(0)
	s_barrier
	buffer_gl0_inv
	ds_read_u16 v10, v7
	ds_read_u16 v16, v8 offset:1360
	ds_read_u16 v22, v8 offset:1190
	;; [unrolled: 1-line block ×13, first 2 shown]
	v_fmac_f16_e32 v47, 0xb8b4, v44
	v_fmac_f16_e32 v14, 0x38b4, v44
	v_add_f16_e32 v39, v45, v39
	v_fmac_f16_e32 v46, 0x34f2, v48
	v_fmac_f16_e32 v43, 0x34f2, v48
	;; [unrolled: 1-line block ×4, first 2 shown]
	s_waitcnt lgkmcnt(0)
	s_barrier
	buffer_gl0_inv
	ds_write_b16 v34, v42
	ds_write_b16 v34, v40 offset:68
	ds_write_b16 v34, v41 offset:136
	;; [unrolled: 1-line block ×4, first 2 shown]
	ds_write_b16 v33, v39
	ds_write_b16 v33, v46 offset:68
	ds_write_b16 v33, v47 offset:136
	;; [unrolled: 1-line block ×4, first 2 shown]
	s_and_saveexec_b32 s1, s0
	s_cbranch_execz .LBB0_22
; %bb.21:
	v_add_f16_e32 v14, v30, v31
	v_add_f16_e32 v34, v29, v32
	;; [unrolled: 1-line block ×3, first 2 shown]
	v_sub_f16_e32 v4, v37, v4
	v_sub_f16_e32 v33, v29, v30
	;; [unrolled: 1-line block ×3, first 2 shown]
	v_fma_f16 v14, -0.5, v14, v11
	v_sub_f16_e32 v35, v35, v36
	v_fmac_f16_e32 v11, -0.5, v34
	v_add_f16_e32 v13, v13, v30
	v_add_f16_e32 v33, v33, v37
	v_mov_b32_e32 v37, 1
	v_fmamk_f16 v36, v4, 0xbb9c, v14
	v_fmamk_f16 v34, v35, 0x3b9c, v11
	v_sub_f16_e32 v29, v30, v29
	v_sub_f16_e32 v30, v31, v32
	v_fmac_f16_e32 v11, 0xbb9c, v35
	v_fmac_f16_e32 v14, 0x3b9c, v4
	v_add_f16_e32 v13, v13, v31
	v_mad_u32_u24 v28, 0x154, v28, 0
	v_lshlrev_b32_sdwa v15, v37, v15 dst_sel:DWORD dst_unused:UNUSED_PAD src0_sel:DWORD src1_sel:BYTE_0
	v_fmac_f16_e32 v36, 0xb8b4, v35
	v_fmac_f16_e32 v34, 0xb8b4, v4
	v_add_f16_e32 v29, v29, v30
	v_fmac_f16_e32 v11, 0x38b4, v4
	v_fmac_f16_e32 v14, 0x38b4, v35
	v_add_f16_e32 v13, v13, v32
	v_add3_u32 v0, v28, v15, v0
	v_fmac_f16_e32 v36, 0x34f2, v33
	v_fmac_f16_e32 v34, 0x34f2, v29
	;; [unrolled: 1-line block ×4, first 2 shown]
	ds_write_b16 v0, v13
	ds_write_b16 v0, v36 offset:68
	ds_write_b16 v0, v34 offset:136
	;; [unrolled: 1-line block ×4, first 2 shown]
.LBB0_22:
	s_or_b32 exec_lo, exec_lo, s1
	s_waitcnt lgkmcnt(0)
	s_barrier
	buffer_gl0_inv
	s_and_saveexec_b32 s0, vcc_lo
	s_cbranch_execz .LBB0_24
; %bb.23:
	v_mul_u32_u24_e32 v0, 6, v9
	v_mul_lo_u32 v4, s2, v6
	v_mul_hi_u32 v9, 0xc0c0c0c1, v9
	v_lshlrev_b32_e32 v0, 2, v0
	s_clause 0x1
	global_load_dwordx4 v[28:31], v0, s[12:13] offset:612
	global_load_dwordx2 v[13:14], v0, s[12:13] offset:628
	v_mul_u32_u24_e32 v0, 6, v3
	v_lshlrev_b32_e32 v0, 2, v0
	s_clause 0x1
	global_load_dwordx4 v[32:35], v0, s[12:13] offset:612
	global_load_dwordx2 v[36:37], v0, s[12:13] offset:628
	ds_read_u16 v11, v8 offset:1190
	ds_read_u16 v15, v8 offset:1020
	;; [unrolled: 1-line block ×12, first 2 shown]
	v_mul_lo_u32 v0, s3, v5
	v_mad_u64_u32 v[5:6], null, s2, v5, 0
	ds_read_u16 v50, v8 offset:170
	ds_read_u16 v51, v7
	v_add3_u32 v6, v6, v4, v0
	v_mov_b32_e32 v4, 0
	v_lshlrev_b64 v[0:1], 2, v[1:2]
	v_lshrrev_b32_e32 v2, 7, v9
	v_lshlrev_b64 v[5:6], 2, v[5:6]
	v_lshlrev_b64 v[38:39], 2, v[3:4]
	v_mul_u32_u24_e32 v3, 0x3fc, v2
	v_add_co_u32 v5, vcc_lo, s10, v5
	v_add_co_ci_u32_e32 v6, vcc_lo, s11, v6, vcc_lo
	v_add_co_u32 v2, vcc_lo, v5, v0
	v_add_co_ci_u32_e32 v5, vcc_lo, v6, v1, vcc_lo
	v_lshlrev_b64 v[0:1], 2, v[3:4]
	v_add_co_u32 v2, vcc_lo, v2, v38
	v_add_co_ci_u32_e32 v3, vcc_lo, v5, v39, vcc_lo
	v_add_co_u32 v0, vcc_lo, v2, v0
	v_add_co_ci_u32_e32 v1, vcc_lo, v3, v1, vcc_lo
	;; [unrolled: 2-line block ×6, first 2 shown]
	s_waitcnt vmcnt(3) lgkmcnt(9)
	v_mul_f16_sdwa v52, v42, v28 dst_sel:DWORD dst_unused:UNUSED_PAD src0_sel:DWORD src1_sel:WORD_1
	s_waitcnt vmcnt(2) lgkmcnt(7)
	v_mul_f16_sdwa v53, v44, v14 dst_sel:DWORD dst_unused:UNUSED_PAD src0_sel:DWORD src1_sel:WORD_1
	s_waitcnt lgkmcnt(3)
	v_mul_f16_sdwa v54, v48, v31 dst_sel:DWORD dst_unused:UNUSED_PAD src0_sel:DWORD src1_sel:WORD_1
	v_mul_f16_sdwa v55, v11, v30 dst_sel:DWORD dst_unused:UNUSED_PAD src0_sel:DWORD src1_sel:WORD_1
	;; [unrolled: 1-line block ×10, first 2 shown]
	s_waitcnt vmcnt(1)
	v_mul_f16_sdwa v64, v43, v32 dst_sel:DWORD dst_unused:UNUSED_PAD src0_sel:DWORD src1_sel:WORD_1
	s_waitcnt vmcnt(0)
	v_mul_f16_sdwa v65, v45, v37 dst_sel:DWORD dst_unused:UNUSED_PAD src0_sel:DWORD src1_sel:WORD_1
	s_waitcnt lgkmcnt(2)
	v_mul_f16_sdwa v66, v49, v35 dst_sel:DWORD dst_unused:UNUSED_PAD src0_sel:DWORD src1_sel:WORD_1
	v_mul_f16_sdwa v67, v15, v34 dst_sel:DWORD dst_unused:UNUSED_PAD src0_sel:DWORD src1_sel:WORD_1
	;; [unrolled: 1-line block ×10, first 2 shown]
	v_fma_f16 v24, v24, v28, -v52
	v_fma_f16 v26, v26, v14, -v53
	;; [unrolled: 1-line block ×6, first 2 shown]
	v_fmac_f16_e32 v58, v14, v44
	v_fmac_f16_e32 v59, v28, v42
	;; [unrolled: 1-line block ×6, first 2 shown]
	v_fma_f16 v11, v19, v32, -v64
	v_fma_f16 v13, v21, v37, -v65
	v_fma_f16 v14, v16, v35, -v66
	v_fma_f16 v16, v17, v34, -v67
	v_fma_f16 v17, v18, v33, -v68
	v_fma_f16 v18, v20, v36, -v69
	v_fmac_f16_e32 v70, v37, v45
	v_fmac_f16_e32 v71, v32, v43
	;; [unrolled: 1-line block ×6, first 2 shown]
	v_sub_f16_e32 v15, v24, v26
	v_sub_f16_e32 v19, v27, v22
	;; [unrolled: 1-line block ×3, first 2 shown]
	v_add_f16_e32 v21, v59, v58
	v_add_f16_e32 v28, v61, v60
	;; [unrolled: 1-line block ×6, first 2 shown]
	v_sub_f16_e32 v25, v59, v58
	v_sub_f16_e32 v26, v61, v60
	;; [unrolled: 1-line block ×5, first 2 shown]
	v_add_f16_e32 v33, v71, v70
	v_add_f16_e32 v35, v75, v74
	v_add_f16_e32 v11, v11, v13
	v_add_f16_e32 v13, v14, v16
	v_add_f16_e32 v14, v17, v18
	v_sub_f16_e32 v32, v17, v18
	v_add_f16_e32 v34, v73, v72
	v_sub_f16_e32 v16, v71, v70
	v_sub_f16_e32 v17, v73, v72
	v_sub_f16_e32 v18, v75, v74
	v_sub_f16_e32 v36, v15, v19
	v_sub_f16_e32 v37, v19, v20
	v_add_f16_e32 v19, v19, v20
	v_sub_f16_e32 v41, v28, v29
	v_add_f16_e32 v42, v21, v29
	v_sub_f16_e32 v43, v24, v22
	v_sub_f16_e32 v44, v22, v23
	v_add_f16_e32 v45, v24, v23
	v_sub_f16_e32 v46, v25, v26
	;; [unrolled: 3-line block ×3, first 2 shown]
	v_add_f16_e32 v52, v33, v35
	v_add_f16_e32 v55, v11, v14
	v_sub_f16_e32 v40, v21, v28
	v_sub_f16_e32 v21, v29, v21
	;; [unrolled: 1-line block ×6, first 2 shown]
	v_add_f16_e32 v31, v31, v32
	v_sub_f16_e32 v48, v33, v34
	v_sub_f16_e32 v49, v34, v35
	;; [unrolled: 1-line block ×6, first 2 shown]
	v_add_f16_e32 v17, v17, v18
	v_sub_f16_e32 v32, v32, v30
	v_sub_f16_e32 v33, v35, v33
	;; [unrolled: 1-line block ×4, first 2 shown]
	v_mul_f16_e32 v18, 0xb846, v37
	v_mul_f16_e32 v35, 0x2b26, v41
	v_add_f16_e32 v28, v28, v42
	v_mul_f16_e32 v37, 0x3a52, v43
	v_mul_f16_e32 v41, 0x2b26, v44
	v_add_f16_e32 v22, v22, v45
	v_add_f16_e32 v25, v25, v26
	v_mul_f16_e32 v26, 0x3b00, v20
	v_add_f16_e32 v34, v34, v52
	v_add_f16_e32 v13, v13, v55
	;; [unrolled: 1-line block ×3, first 2 shown]
	v_mul_f16_e32 v19, 0x3a52, v40
	v_mul_f16_e32 v42, 0xb846, v47
	;; [unrolled: 1-line block ×7, first 2 shown]
	v_add_f16_e32 v16, v16, v17
	v_mul_f16_e32 v17, 0x3b00, v32
	v_mul_f16_e32 v54, 0x3b00, v14
	v_fmamk_f16 v55, v36, 0x3574, v18
	s_waitcnt lgkmcnt(1)
	v_add_f16_e32 v50, v50, v28
	v_fmamk_f16 v43, v43, 0x3a52, v41
	v_add_f16_e32 v12, v12, v22
	v_fma_f16 v26, v36, 0xb574, -v26
	v_fma_f16 v36, v23, 0xb9e0, -v37
	;; [unrolled: 1-line block ×4, first 2 shown]
	s_waitcnt lgkmcnt(0)
	v_add_f16_e32 v41, v51, v34
	v_add_f16_e32 v10, v10, v13
	;; [unrolled: 1-line block ×3, first 2 shown]
	v_mul_f16_e32 v31, 0x3a52, v48
	v_mul_f16_e32 v47, 0x3a52, v53
	v_fmamk_f16 v40, v40, 0x3a52, v35
	v_fmamk_f16 v57, v46, 0x3574, v42
	v_fma_f16 v19, v21, 0xb9e0, -v19
	v_fma_f16 v37, v46, 0xb574, -v44
	;; [unrolled: 1-line block ×4, first 2 shown]
	v_fmamk_f16 v24, v27, 0x3574, v29
	v_fmamk_f16 v35, v48, 0x3a52, v45
	;; [unrolled: 1-line block ×4, first 2 shown]
	v_fma_f16 v17, v27, 0xb574, -v17
	v_fma_f16 v46, v56, 0xb574, -v54
	v_fma_f16 v29, v32, 0x3b00, -v29
	v_fma_f16 v14, v14, 0x3b00, -v52
	v_fmac_f16_e32 v55, 0x370e, v15
	v_fmamk_f16 v28, v28, 0xbcab, v50
	v_fmamk_f16 v22, v22, 0xbcab, v12
	v_fmac_f16_e32 v26, 0x370e, v15
	v_fmac_f16_e32 v18, 0x370e, v15
	v_fmamk_f16 v15, v34, 0xbcab, v41
	v_fmamk_f16 v13, v13, 0xbcab, v10
	v_fma_f16 v27, v33, 0xb9e0, -v31
	v_fma_f16 v31, v11, 0xb9e0, -v47
	;; [unrolled: 1-line block ×4, first 2 shown]
	v_fmac_f16_e32 v57, 0x370e, v25
	v_fmac_f16_e32 v37, 0x370e, v25
	;; [unrolled: 1-line block ×9, first 2 shown]
	v_add_f16_e32 v16, v40, v28
	v_add_f16_e32 v25, v43, v22
	;; [unrolled: 1-line block ×12, first 2 shown]
	v_pack_b32_f16 v10, v10, v41
	v_sub_f16_e32 v13, v25, v57
	v_add_f16_e32 v35, v20, v22
	v_sub_f16_e32 v20, v22, v20
	v_add_f16_e32 v22, v57, v25
	v_add_f16_e32 v25, v24, v23
	v_sub_f16_e32 v23, v23, v24
	v_add_f16_e32 v24, v44, v28
	v_sub_f16_e32 v33, v30, v37
	v_sub_f16_e32 v34, v21, v18
	v_add_f16_e32 v18, v18, v21
	v_add_f16_e32 v21, v37, v30
	;; [unrolled: 1-line block ×3, first 2 shown]
	v_sub_f16_e32 v17, v27, v17
	v_add_f16_e32 v27, v46, v31
	v_add_f16_e32 v32, v26, v19
	v_sub_f16_e32 v19, v19, v26
	v_sub_f16_e32 v26, v28, v44
	;; [unrolled: 1-line block ×3, first 2 shown]
	v_add_f16_e32 v15, v29, v15
	v_sub_f16_e32 v28, v11, v14
	v_add_f16_e32 v11, v14, v11
	v_sub_f16_e32 v14, v31, v46
	global_store_dword v[2:3], v10, off
	v_add_f16_e32 v10, v55, v16
	v_sub_f16_e32 v16, v16, v55
	v_pack_b32_f16 v23, v24, v23
	v_pack_b32_f16 v17, v27, v17
	;; [unrolled: 1-line block ×13, first 2 shown]
	global_store_dword v[2:3], v23, off offset:680
	global_store_dword v[2:3], v17, off offset:1360
	global_store_dword v[2:3], v15, off offset:2040
	global_store_dword v[4:5], v11, off offset:672
	global_store_dword v[4:5], v14, off offset:1352
	global_store_dword v[4:5], v24, off offset:2032
	global_store_dword v[0:1], v12, off offset:340
	global_store_dword v[0:1], v16, off offset:1020
	global_store_dword v[0:1], v19, off offset:1700
	global_store_dword v[6:7], v18, off offset:2040
	global_store_dword v[8:9], v20, off offset:1012
	global_store_dword v[8:9], v21, off offset:1692
	global_store_dword v[38:39], v10, off offset:324
.LBB0_24:
	s_endpgm
	.section	.rodata,"a",@progbits
	.p2align	6, 0x0
	.amdhsa_kernel fft_rtc_fwd_len1190_factors_17_2_5_7_wgs_255_tpt_85_halfLds_half_op_CI_CI_unitstride_sbrr_dirReg
		.amdhsa_group_segment_fixed_size 0
		.amdhsa_private_segment_fixed_size 0
		.amdhsa_kernarg_size 104
		.amdhsa_user_sgpr_count 6
		.amdhsa_user_sgpr_private_segment_buffer 1
		.amdhsa_user_sgpr_dispatch_ptr 0
		.amdhsa_user_sgpr_queue_ptr 0
		.amdhsa_user_sgpr_kernarg_segment_ptr 1
		.amdhsa_user_sgpr_dispatch_id 0
		.amdhsa_user_sgpr_flat_scratch_init 0
		.amdhsa_user_sgpr_private_segment_size 0
		.amdhsa_wavefront_size32 1
		.amdhsa_uses_dynamic_stack 0
		.amdhsa_system_sgpr_private_segment_wavefront_offset 0
		.amdhsa_system_sgpr_workgroup_id_x 1
		.amdhsa_system_sgpr_workgroup_id_y 0
		.amdhsa_system_sgpr_workgroup_id_z 0
		.amdhsa_system_sgpr_workgroup_info 0
		.amdhsa_system_vgpr_workitem_id 0
		.amdhsa_next_free_vgpr 97
		.amdhsa_next_free_sgpr 27
		.amdhsa_reserve_vcc 1
		.amdhsa_reserve_flat_scratch 0
		.amdhsa_float_round_mode_32 0
		.amdhsa_float_round_mode_16_64 0
		.amdhsa_float_denorm_mode_32 3
		.amdhsa_float_denorm_mode_16_64 3
		.amdhsa_dx10_clamp 1
		.amdhsa_ieee_mode 1
		.amdhsa_fp16_overflow 0
		.amdhsa_workgroup_processor_mode 1
		.amdhsa_memory_ordered 1
		.amdhsa_forward_progress 0
		.amdhsa_shared_vgpr_count 0
		.amdhsa_exception_fp_ieee_invalid_op 0
		.amdhsa_exception_fp_denorm_src 0
		.amdhsa_exception_fp_ieee_div_zero 0
		.amdhsa_exception_fp_ieee_overflow 0
		.amdhsa_exception_fp_ieee_underflow 0
		.amdhsa_exception_fp_ieee_inexact 0
		.amdhsa_exception_int_div_zero 0
	.end_amdhsa_kernel
	.text
.Lfunc_end0:
	.size	fft_rtc_fwd_len1190_factors_17_2_5_7_wgs_255_tpt_85_halfLds_half_op_CI_CI_unitstride_sbrr_dirReg, .Lfunc_end0-fft_rtc_fwd_len1190_factors_17_2_5_7_wgs_255_tpt_85_halfLds_half_op_CI_CI_unitstride_sbrr_dirReg
                                        ; -- End function
	.section	.AMDGPU.csdata,"",@progbits
; Kernel info:
; codeLenInByte = 12060
; NumSgprs: 29
; NumVgprs: 97
; ScratchSize: 0
; MemoryBound: 0
; FloatMode: 240
; IeeeMode: 1
; LDSByteSize: 0 bytes/workgroup (compile time only)
; SGPRBlocks: 3
; VGPRBlocks: 12
; NumSGPRsForWavesPerEU: 29
; NumVGPRsForWavesPerEU: 97
; Occupancy: 9
; WaveLimiterHint : 1
; COMPUTE_PGM_RSRC2:SCRATCH_EN: 0
; COMPUTE_PGM_RSRC2:USER_SGPR: 6
; COMPUTE_PGM_RSRC2:TRAP_HANDLER: 0
; COMPUTE_PGM_RSRC2:TGID_X_EN: 1
; COMPUTE_PGM_RSRC2:TGID_Y_EN: 0
; COMPUTE_PGM_RSRC2:TGID_Z_EN: 0
; COMPUTE_PGM_RSRC2:TIDIG_COMP_CNT: 0
	.text
	.p2alignl 6, 3214868480
	.fill 48, 4, 3214868480
	.type	__hip_cuid_a0c36f6fc7a83e3c,@object ; @__hip_cuid_a0c36f6fc7a83e3c
	.section	.bss,"aw",@nobits
	.globl	__hip_cuid_a0c36f6fc7a83e3c
__hip_cuid_a0c36f6fc7a83e3c:
	.byte	0                               ; 0x0
	.size	__hip_cuid_a0c36f6fc7a83e3c, 1

	.ident	"AMD clang version 19.0.0git (https://github.com/RadeonOpenCompute/llvm-project roc-6.4.0 25133 c7fe45cf4b819c5991fe208aaa96edf142730f1d)"
	.section	".note.GNU-stack","",@progbits
	.addrsig
	.addrsig_sym __hip_cuid_a0c36f6fc7a83e3c
	.amdgpu_metadata
---
amdhsa.kernels:
  - .args:
      - .actual_access:  read_only
        .address_space:  global
        .offset:         0
        .size:           8
        .value_kind:     global_buffer
      - .offset:         8
        .size:           8
        .value_kind:     by_value
      - .actual_access:  read_only
        .address_space:  global
        .offset:         16
        .size:           8
        .value_kind:     global_buffer
      - .actual_access:  read_only
        .address_space:  global
        .offset:         24
        .size:           8
        .value_kind:     global_buffer
      - .actual_access:  read_only
        .address_space:  global
        .offset:         32
        .size:           8
        .value_kind:     global_buffer
      - .offset:         40
        .size:           8
        .value_kind:     by_value
      - .actual_access:  read_only
        .address_space:  global
        .offset:         48
        .size:           8
        .value_kind:     global_buffer
      - .actual_access:  read_only
        .address_space:  global
        .offset:         56
        .size:           8
        .value_kind:     global_buffer
      - .offset:         64
        .size:           4
        .value_kind:     by_value
      - .actual_access:  read_only
        .address_space:  global
        .offset:         72
        .size:           8
        .value_kind:     global_buffer
      - .actual_access:  read_only
        .address_space:  global
        .offset:         80
        .size:           8
        .value_kind:     global_buffer
      - .actual_access:  read_only
        .address_space:  global
        .offset:         88
        .size:           8
        .value_kind:     global_buffer
      - .actual_access:  write_only
        .address_space:  global
        .offset:         96
        .size:           8
        .value_kind:     global_buffer
    .group_segment_fixed_size: 0
    .kernarg_segment_align: 8
    .kernarg_segment_size: 104
    .language:       OpenCL C
    .language_version:
      - 2
      - 0
    .max_flat_workgroup_size: 255
    .name:           fft_rtc_fwd_len1190_factors_17_2_5_7_wgs_255_tpt_85_halfLds_half_op_CI_CI_unitstride_sbrr_dirReg
    .private_segment_fixed_size: 0
    .sgpr_count:     29
    .sgpr_spill_count: 0
    .symbol:         fft_rtc_fwd_len1190_factors_17_2_5_7_wgs_255_tpt_85_halfLds_half_op_CI_CI_unitstride_sbrr_dirReg.kd
    .uniform_work_group_size: 1
    .uses_dynamic_stack: false
    .vgpr_count:     97
    .vgpr_spill_count: 0
    .wavefront_size: 32
    .workgroup_processor_mode: 1
amdhsa.target:   amdgcn-amd-amdhsa--gfx1030
amdhsa.version:
  - 1
  - 2
...

	.end_amdgpu_metadata
